;; amdgpu-corpus repo=ROCm/rocFFT kind=compiled arch=gfx1201 opt=O3
	.text
	.amdgcn_target "amdgcn-amd-amdhsa--gfx1201"
	.amdhsa_code_object_version 6
	.protected	bluestein_single_back_len306_dim1_half_op_CI_CI ; -- Begin function bluestein_single_back_len306_dim1_half_op_CI_CI
	.globl	bluestein_single_back_len306_dim1_half_op_CI_CI
	.p2align	8
	.type	bluestein_single_back_len306_dim1_half_op_CI_CI,@function
bluestein_single_back_len306_dim1_half_op_CI_CI: ; @bluestein_single_back_len306_dim1_half_op_CI_CI
; %bb.0:
	s_load_b128 s[4:7], s[0:1], 0x28
	v_mul_u32_u24_e32 v1, 0x788, v0
	s_mov_b32 s2, exec_lo
	s_delay_alu instid0(VALU_DEP_1) | instskip(NEXT) | instid1(VALU_DEP_1)
	v_lshrrev_b32_e32 v1, 16, v1
	v_mad_co_u64_u32 v[8:9], null, ttmp9, 7, v[1:2]
	v_mov_b32_e32 v9, 0
                                        ; kill: def $vgpr2 killed $sgpr0 killed $exec
	s_wait_kmcnt 0x0
	s_delay_alu instid0(VALU_DEP_1)
	v_cmpx_gt_u64_e64 s[4:5], v[8:9]
	s_cbranch_execz .LBB0_23
; %bb.1:
	v_mul_hi_u32 v2, 0x24924925, v8
	v_mul_lo_u16 v1, v1, 34
	s_clause 0x1
	s_load_b64 s[12:13], s[0:1], 0x0
	s_load_b64 s[14:15], s[0:1], 0x38
	s_delay_alu instid0(VALU_DEP_1) | instskip(NEXT) | instid1(VALU_DEP_3)
	v_sub_nc_u16 v0, v0, v1
	v_sub_nc_u32_e32 v3, v8, v2
	s_delay_alu instid0(VALU_DEP_2) | instskip(SKIP_1) | instid1(VALU_DEP_3)
	v_and_b32_e32 v28, 0xffff, v0
	v_cmp_gt_u16_e32 vcc_lo, 18, v0
	v_lshrrev_b32_e32 v3, 1, v3
	s_delay_alu instid0(VALU_DEP_3) | instskip(SKIP_1) | instid1(VALU_DEP_3)
	v_lshlrev_b32_e32 v27, 2, v28
	v_or_b32_e32 v26, 0x120, v28
	v_add_nc_u32_e32 v2, v3, v2
	s_delay_alu instid0(VALU_DEP_1) | instskip(NEXT) | instid1(VALU_DEP_1)
	v_lshrrev_b32_e32 v2, 2, v2
	v_mul_lo_u32 v2, v2, 7
	s_delay_alu instid0(VALU_DEP_1) | instskip(NEXT) | instid1(VALU_DEP_1)
	v_sub_nc_u32_e32 v1, v8, v2
	v_mul_u32_u24_e32 v41, 0x132, v1
	s_delay_alu instid0(VALU_DEP_1)
	v_lshlrev_b32_e32 v29, 2, v41
	s_and_saveexec_b32 s3, vcc_lo
	s_cbranch_execz .LBB0_3
; %bb.2:
	s_load_b64 s[4:5], s[0:1], 0x18
	s_wait_kmcnt 0x0
	s_load_b128 s[8:11], s[4:5], 0x0
	s_wait_kmcnt 0x0
	v_mad_co_u64_u32 v[0:1], null, s10, v8, 0
	v_mad_co_u64_u32 v[2:3], null, s8, v28, 0
	;; [unrolled: 1-line block ×3, first 2 shown]
	s_mul_u64 s[4:5], s[8:9], 0x48
	s_delay_alu instid0(VALU_DEP_2) | instskip(NEXT) | instid1(VALU_DEP_2)
	v_mad_co_u64_u32 v[6:7], null, s11, v8, v[1:2]
	v_mad_co_u64_u32 v[9:10], null, s9, v28, v[3:4]
	s_clause 0x7
	global_load_b32 v7, v27, s[12:13]
	global_load_b32 v12, v27, s[12:13] offset:72
	global_load_b32 v13, v27, s[12:13] offset:144
	;; [unrolled: 1-line block ×7, first 2 shown]
	v_mad_co_u64_u32 v[10:11], null, s9, v26, v[5:6]
	v_mov_b32_e32 v1, v6
	v_mov_b32_e32 v3, v9
	s_clause 0x8
	global_load_b32 v6, v27, s[12:13] offset:576
	global_load_b32 v11, v27, s[12:13] offset:648
	global_load_b32 v19, v27, s[12:13] offset:720
	global_load_b32 v20, v27, s[12:13] offset:792
	global_load_b32 v21, v27, s[12:13] offset:864
	global_load_b32 v22, v27, s[12:13] offset:936
	global_load_b32 v23, v27, s[12:13] offset:1008
	global_load_b32 v24, v27, s[12:13] offset:1080
	global_load_b32 v9, v27, s[12:13] offset:1152
	v_lshlrev_b64_e32 v[0:1], 2, v[0:1]
	v_mov_b32_e32 v5, v10
	v_lshlrev_b64_e32 v[2:3], 2, v[2:3]
	s_delay_alu instid0(VALU_DEP_3) | instskip(NEXT) | instid1(VALU_DEP_1)
	v_add_co_u32 v10, s2, s6, v0
	v_add_co_ci_u32_e64 v25, s2, s7, v1, s2
	s_delay_alu instid0(VALU_DEP_4) | instskip(NEXT) | instid1(VALU_DEP_3)
	v_lshlrev_b64_e32 v[0:1], 2, v[4:5]
	v_add_co_u32 v2, s2, v10, v2
	s_wait_alu 0xf1ff
	s_delay_alu instid0(VALU_DEP_3) | instskip(NEXT) | instid1(VALU_DEP_3)
	v_add_co_ci_u32_e64 v3, s2, v25, v3, s2
	v_add_co_u32 v0, s2, v10, v0
	s_wait_alu 0xf1ff
	v_add_co_ci_u32_e64 v1, s2, v25, v1, s2
	s_clause 0x1
	global_load_b32 v4, v[2:3], off
	global_load_b32 v5, v[0:1], off
	s_wait_alu 0xfffe
	v_add_co_u32 v2, s2, v2, s4
	s_wait_alu 0xf1ff
	v_add_co_ci_u32_e64 v3, s2, s5, v3, s2
	s_delay_alu instid0(VALU_DEP_2) | instskip(SKIP_1) | instid1(VALU_DEP_2)
	v_add_co_u32 v0, s2, v2, s4
	s_wait_alu 0xf1ff
	v_add_co_ci_u32_e64 v1, s2, s5, v3, s2
	s_clause 0x1
	global_load_b32 v10, v[2:3], off
	global_load_b32 v25, v[0:1], off
	v_add_co_u32 v0, s2, v0, s4
	s_wait_alu 0xf1ff
	v_add_co_ci_u32_e64 v1, s2, s5, v1, s2
	s_delay_alu instid0(VALU_DEP_2) | instskip(SKIP_1) | instid1(VALU_DEP_2)
	v_add_co_u32 v2, s2, v0, s4
	s_wait_alu 0xf1ff
	v_add_co_ci_u32_e64 v3, s2, s5, v1, s2
	s_clause 0x1
	global_load_b32 v30, v[0:1], off
	global_load_b32 v31, v[2:3], off
	v_add_co_u32 v0, s2, v2, s4
	s_wait_alu 0xf1ff
	v_add_co_ci_u32_e64 v1, s2, s5, v3, s2
	s_delay_alu instid0(VALU_DEP_2) | instskip(SKIP_1) | instid1(VALU_DEP_2)
	v_add_co_u32 v2, s2, v0, s4
	s_wait_alu 0xf1ff
	v_add_co_ci_u32_e64 v3, s2, s5, v1, s2
	global_load_b32 v32, v[0:1], off
	v_add_co_u32 v0, s2, v2, s4
	s_wait_alu 0xf1ff
	v_add_co_ci_u32_e64 v1, s2, s5, v3, s2
	global_load_b32 v33, v[2:3], off
	global_load_b32 v34, v[0:1], off
	v_add_co_u32 v0, s2, v0, s4
	s_wait_alu 0xf1ff
	v_add_co_ci_u32_e64 v1, s2, s5, v1, s2
	s_delay_alu instid0(VALU_DEP_2) | instskip(SKIP_1) | instid1(VALU_DEP_2)
	v_add_co_u32 v2, s2, v0, s4
	s_wait_alu 0xf1ff
	v_add_co_ci_u32_e64 v3, s2, s5, v1, s2
	global_load_b32 v35, v[0:1], off
	v_add_co_u32 v0, s2, v2, s4
	s_wait_alu 0xf1ff
	v_add_co_ci_u32_e64 v1, s2, s5, v3, s2
	global_load_b32 v36, v[2:3], off
	global_load_b32 v37, v[0:1], off
	v_add_co_u32 v0, s2, v0, s4
	s_wait_alu 0xf1ff
	v_add_co_ci_u32_e64 v1, s2, s5, v1, s2
	s_delay_alu instid0(VALU_DEP_2) | instskip(SKIP_1) | instid1(VALU_DEP_2)
	v_add_co_u32 v2, s2, v0, s4
	s_wait_alu 0xf1ff
	v_add_co_ci_u32_e64 v3, s2, s5, v1, s2
	global_load_b32 v38, v[0:1], off
	v_add_co_u32 v0, s2, v2, s4
	s_wait_alu 0xf1ff
	v_add_co_ci_u32_e64 v1, s2, s5, v3, s2
	global_load_b32 v39, v[2:3], off
	v_add_co_u32 v2, s2, v0, s4
	s_wait_alu 0xf1ff
	v_add_co_ci_u32_e64 v3, s2, s5, v1, s2
	global_load_b32 v40, v[0:1], off
	v_add_co_u32 v0, s2, v2, s4
	s_wait_alu 0xf1ff
	v_add_co_ci_u32_e64 v1, s2, s5, v3, s2
	global_load_b32 v2, v[2:3], off
	global_load_b32 v0, v[0:1], off
	v_lshl_add_u32 v1, v28, 2, v29
	v_add_nc_u32_e32 v3, v29, v27
	s_wait_loadcnt 0x21
	v_lshrrev_b32_e32 v42, 16, v7
	s_wait_loadcnt 0x20
	v_lshrrev_b32_e32 v43, 16, v12
	;; [unrolled: 2-line block ×18, first 2 shown]
	v_mul_f16_e32 v59, v42, v4
	s_wait_loadcnt 0xf
	v_lshrrev_b32_e32 v61, 16, v5
	v_mul_f16_e32 v62, v57, v5
	v_mul_f16_e32 v42, v42, v58
	v_fma_f16 v58, v7, v58, -v59
	s_delay_alu instid0(VALU_DEP_4) | instskip(NEXT) | instid1(VALU_DEP_4)
	v_mul_f16_e32 v57, v57, v61
	v_fma_f16 v61, v9, v61, -v62
	s_delay_alu instid0(VALU_DEP_4) | instskip(NEXT) | instid1(VALU_DEP_3)
	v_fmac_f16_e32 v42, v7, v4
	v_fmac_f16_e32 v57, v9, v5
	s_wait_loadcnt 0xe
	v_lshrrev_b32_e32 v59, 16, v10
	v_mul_f16_e32 v63, v43, v10
	v_pack_b32_f16 v5, v42, v58
	s_delay_alu instid0(VALU_DEP_3)
	v_mul_f16_e32 v4, v43, v59
	s_wait_loadcnt 0xd
	v_lshrrev_b32_e32 v43, 16, v25
	v_fma_f16 v7, v12, v59, -v63
	v_mul_f16_e32 v59, v44, v25
	ds_store_b32 v1, v5
	v_fmac_f16_e32 v4, v12, v10
	v_mul_f16_e32 v9, v44, v43
	s_wait_loadcnt 0xc
	v_lshrrev_b32_e32 v12, 16, v30
	v_fma_f16 v10, v13, v43, -v59
	v_mul_f16_e32 v42, v45, v30
	v_pack_b32_f16 v1, v4, v7
	v_fmac_f16_e32 v9, v13, v25
	v_mul_f16_e32 v4, v45, v12
	s_wait_loadcnt 0xb
	v_lshrrev_b32_e32 v5, 16, v31
	v_mul_f16_e32 v7, v46, v31
	v_fma_f16 v12, v14, v12, -v42
	v_pack_b32_f16 v9, v9, v10
	v_fmac_f16_e32 v4, v14, v30
	v_mul_f16_e32 v10, v46, v5
	v_fma_f16 v5, v15, v5, -v7
	s_wait_loadcnt 0xa
	v_lshrrev_b32_e32 v7, 16, v32
	v_mul_f16_e32 v13, v47, v32
	ds_store_2addr_b32 v3, v1, v9 offset0:18 offset1:36
	v_pack_b32_f16 v1, v4, v12
	v_fmac_f16_e32 v10, v15, v31
	v_mul_f16_e32 v4, v47, v7
	s_wait_loadcnt 0x9
	v_lshrrev_b32_e32 v9, 16, v33
	v_mul_f16_e32 v12, v48, v33
	v_fma_f16 v7, v16, v7, -v13
	v_pack_b32_f16 v5, v10, v5
	v_fmac_f16_e32 v4, v16, v32
	v_mul_f16_e32 v10, v48, v9
	v_fma_f16 v9, v17, v9, -v12
	s_wait_loadcnt 0x8
	v_lshrrev_b32_e32 v12, 16, v34
	v_mul_f16_e32 v13, v49, v34
	ds_store_2addr_b32 v3, v1, v5 offset0:54 offset1:72
	;; [unrolled: 15-line block ×4, first 2 shown]
	v_pack_b32_f16 v1, v4, v7
	v_fmac_f16_e32 v10, v19, v37
	s_wait_loadcnt 0x3
	v_lshrrev_b32_e32 v4, 16, v39
	v_mul_f16_e32 v5, v53, v9
	v_fma_f16 v7, v20, v9, -v11
	v_mul_f16_e32 v9, v54, v39
	v_pack_b32_f16 v6, v10, v6
	v_mul_f16_e32 v10, v54, v4
	s_wait_loadcnt 0x2
	v_lshrrev_b32_e32 v11, 16, v40
	s_wait_loadcnt 0x1
	v_lshrrev_b32_e32 v12, 16, v2
	v_fma_f16 v4, v21, v4, -v9
	v_mul_f16_e32 v9, v55, v40
	s_wait_loadcnt 0x0
	v_lshrrev_b32_e32 v14, 16, v0
	v_mul_f16_e32 v13, v55, v11
	v_mul_f16_e32 v15, v56, v12
	;; [unrolled: 1-line block ×3, first 2 shown]
	v_fma_f16 v9, v22, v11, -v9
	v_mul_f16_e32 v11, v56, v2
	v_mul_f16_e32 v17, v60, v14
	v_fmac_f16_e32 v5, v20, v38
	v_fmac_f16_e32 v10, v21, v39
	;; [unrolled: 1-line block ×3, first 2 shown]
	v_fma_f16 v11, v23, v12, -v11
	v_fmac_f16_e32 v15, v23, v2
	v_fma_f16 v2, v24, v14, -v16
	v_fmac_f16_e32 v17, v24, v0
	v_pack_b32_f16 v0, v5, v7
	v_pack_b32_f16 v4, v10, v4
	;; [unrolled: 1-line block ×6, first 2 shown]
	v_add_nc_u32_e32 v9, 0x400, v3
	ds_store_2addr_b32 v3, v1, v6 offset0:162 offset1:180
	ds_store_2addr_b32 v3, v0, v4 offset0:198 offset1:216
	;; [unrolled: 1-line block ×4, first 2 shown]
.LBB0_3:
	s_or_b32 exec_lo, exec_lo, s3
	v_mov_b32_e32 v0, 0
                                        ; kill: def $vgpr1 killed $sgpr0 killed $exec
	global_wb scope:SCOPE_SE
	s_wait_dscnt 0x0
	s_wait_kmcnt 0x0
	s_barrier_signal -1
	s_barrier_wait -1
	global_inv scope:SCOPE_SE
                                        ; implicit-def: $vgpr18
                                        ; implicit-def: $vgpr6
                                        ; implicit-def: $vgpr22
                                        ; implicit-def: $vgpr4
                                        ; implicit-def: $vgpr20
                                        ; implicit-def: $vgpr2
                                        ; implicit-def: $vgpr24
                                        ; implicit-def: $vgpr15
	s_and_saveexec_b32 s2, vcc_lo
	s_cbranch_execz .LBB0_5
; %bb.4:
	v_lshl_add_u32 v9, v41, 2, v27
	ds_load_2addr_b32 v[0:1], v9 offset1:18
	ds_load_2addr_b32 v[23:24], v9 offset0:36 offset1:54
	ds_load_2addr_b32 v[19:20], v9 offset0:72 offset1:90
	v_add_nc_u32_e32 v2, 0x200, v9
	ds_load_2addr_b32 v[21:22], v9 offset0:108 offset1:126
	ds_load_2addr_b32 v[17:18], v9 offset0:144 offset1:162
	;; [unrolled: 1-line block ×5, first 2 shown]
	ds_load_b32 v15, v9 offset:1152
.LBB0_5:
	s_wait_alu 0xfffe
	s_or_b32 exec_lo, exec_lo, s2
	s_wait_dscnt 0x0
	v_pk_add_f16 v25, v1, v15 neg_lo:[0,1] neg_hi:[0,1]
	v_pk_add_f16 v31, v23, v3 neg_lo:[0,1] neg_hi:[0,1]
	v_pk_add_f16 v83, v15, v1
	v_pk_add_f16 v32, v24, v2 neg_lo:[0,1] neg_hi:[0,1]
	v_pk_add_f16 v71, v3, v23
	v_lshrrev_b32_e32 v93, 16, v25
	v_lshrrev_b32_e32 v90, 16, v31
	v_pk_add_f16 v33, v19, v5 neg_lo:[0,1] neg_hi:[0,1]
	v_lshrrev_b32_e32 v38, 16, v32
	v_pk_add_f16 v72, v2, v24
	v_mul_f16_e32 v36, 0xb5c8, v93
	v_mul_f16_e32 v44, 0xb964, v93
	;; [unrolled: 1-line block ×5, first 2 shown]
	v_fmamk_f16 v9, v83, 0x3b76, v36
	v_fmamk_f16 v10, v83, 0x39e9, v44
	;; [unrolled: 1-line block ×3, first 2 shown]
	v_lshrrev_b32_e32 v82, 16, v33
	v_pk_add_f16 v34, v20, v4 neg_lo:[0,1] neg_hi:[0,1]
	v_add_f16_e32 v9, v9, v0
	v_fmamk_f16 v62, v71, 0x2de8, v40
	v_fmamk_f16 v64, v72, 0x3722, v42
	v_mul_f16_e32 v43, 0xba62, v38
	v_pk_add_f16 v73, v5, v19
	v_mul_f16_e32 v45, 0xbbf7, v82
	v_lshrrev_b32_e32 v37, 16, v34
	v_pk_add_f16 v30, v21, v7 neg_lo:[0,1] neg_hi:[0,1]
	v_add_f16_e32 v10, v10, v0
	v_add_f16_e32 v9, v57, v9
	v_mul_f16_e32 v53, 0xbbf7, v93
	v_fmamk_f16 v78, v72, 0xb8d2, v43
	v_mul_f16_e32 v46, 0xb1e1, v82
	v_fmamk_f16 v80, v73, 0x2de8, v45
	v_pk_add_f16 v76, v4, v20
	v_mul_f16_e32 v48, 0xbbb2, v37
	v_lshrrev_b32_e32 v35, 16, v30
	v_pk_add_f16 v16, v22, v6 neg_lo:[0,1] neg_hi:[0,1]
	v_add_f16_e32 v10, v62, v10
	v_add_f16_e32 v9, v64, v9
	v_mul_f16_e32 v47, 0xbb29, v93
	v_fmamk_f16 v12, v83, 0x2de8, v53
	v_mul_f16_e32 v54, 0xb1e1, v90
	v_fmamk_f16 v86, v73, 0xbbdd, v46
	;; [unrolled: 2-line block ×3, first 2 shown]
	v_pk_add_f16 v74, v7, v21
	v_mul_f16_e32 v49, 0xba62, v35
	v_lshrrev_b32_e32 v118, 16, v16
	v_add_f16_e32 v10, v78, v10
	v_pk_add_f16 v129, v17, v18 neg_lo:[0,1] neg_hi:[0,1]
	v_add_f16_e32 v9, v80, v9
	v_fmamk_f16 v11, v83, 0x3722, v47
	v_mul_f16_e32 v51, 0xba62, v90
	v_fmamk_f16 v75, v71, 0xbbdd, v54
	v_mul_f16_e32 v58, 0x3bb2, v38
	v_fmamk_f16 v89, v76, 0xbacd, v50
	v_fmamk_f16 v95, v74, 0xb8d2, v49
	v_mul_f16_e32 v59, 0x3bb2, v35
	v_pk_add_f16 v84, v6, v22
	v_mul_f16_e32 v57, 0xb836, v118
	v_add_f16_e32 v10, v86, v10
	v_lshrrev_b32_e32 v130, 16, v129
	v_add_f16_e32 v9, v88, v9
	v_add_f16_e32 v12, v12, v0
	v_mul_f16_e32 v56, 0xbbb2, v93
	v_fmamk_f16 v66, v71, 0xb8d2, v51
	v_mul_f16_e32 v52, 0x31e1, v38
	v_fmamk_f16 v85, v72, 0xb461, v58
	;; [unrolled: 2-line block ×3, first 2 shown]
	v_fmamk_f16 v78, v84, 0xbacd, v57
	v_mul_f16_e32 v62, 0x3b29, v118
	v_add_f16_e32 v11, v11, v0
	v_pk_add_f16 v88, v18, v17
	v_add_f16_e32 v10, v89, v10
	v_mul_f16_e64 v64, 0xb1e1, v130
	v_add_f16_e32 v9, v95, v9
	v_add_f16_e32 v12, v75, v12
	v_mul_f16_e32 v65, 0xba62, v93
	v_fmamk_f16 v13, v83, 0xb461, v56
	v_mul_f16_e32 v60, 0x3836, v90
	v_fmamk_f16 v81, v72, 0xbbdd, v52
	;; [unrolled: 2-line block ×3, first 2 shown]
	v_add_f16_e32 v11, v66, v11
	v_fmamk_f16 v80, v84, 0x3722, v62
	v_mul_f16_e64 v66, 0x35c8, v130
	v_add_f16_e32 v10, v96, v10
	v_fmamk_f16 v89, v88, 0xbbdd, v64
	v_add_f16_e32 v9, v78, v9
	v_mul_f16_e32 v86, 0xbb29, v37
	v_add_f16_e32 v12, v85, v12
	v_fmamk_f16 v14, v83, 0xb8d2, v65
	v_mul_f16_e32 v67, 0x3bb2, v90
	v_fmamk_f16 v77, v71, 0xbacd, v60
	v_mul_f16_e32 v61, 0x3964, v38
	;; [unrolled: 2-line block ×3, first 2 shown]
	v_fmamk_f16 v78, v88, 0x3b76, v66
	v_add_f16_e32 v80, v80, v10
	v_add_f16_e32 v10, v89, v9
	v_fmamk_f16 v95, v76, 0x3722, v86
	v_add_f16_e32 v11, v81, v11
	v_mul_f16_e32 v89, 0xb836, v35
	v_add_f16_e32 v13, v13, v0
	v_add_f16_e32 v12, v94, v12
	v_fmamk_f16 v79, v71, 0xb461, v67
	v_fmamk_f16 v91, v72, 0x39e9, v61
	v_mul_f16_e32 v70, 0xb5c8, v38
	v_mul_f16_e32 v69, 0xbb29, v82
	v_fmamk_f16 v75, v76, 0x39e9, v68
	v_add_f16_e32 v9, v78, v80
	v_mul_f16_e32 v80, 0xb5c8, v35
	v_add_f16_e32 v11, v87, v11
	v_fmamk_f16 v94, v74, 0xbacd, v89
	v_add_f16_e32 v13, v77, v13
	v_add_f16_e32 v12, v95, v12
	;; [unrolled: 1-line block ×3, first 2 shown]
	v_fmamk_f16 v92, v72, 0x3b76, v70
	v_mul_f16_e32 v78, 0xbbf7, v118
	v_fmamk_f16 v81, v74, 0x3b76, v80
	v_add_f16_e32 v11, v75, v11
	v_add_f16_e32 v12, v94, v12
	;; [unrolled: 1-line block ×3, first 2 shown]
	v_mul_f16_e32 v106, 0xb836, v82
	v_add_f16_e32 v13, v91, v13
	v_fmamk_f16 v91, v73, 0x3722, v69
	v_mul_f16_e32 v94, 0xb1e1, v37
	v_fmamk_f16 v77, v84, 0x2de8, v78
	v_mul_f16_e32 v87, 0x3a62, v118
	v_mul_f16_e64 v75, 0xb836, v130
	v_add_f16_e32 v11, v81, v11
	v_fmamk_f16 v96, v73, 0xbacd, v106
	v_add_f16_e32 v14, v92, v14
	v_mul_f16_e32 v107, 0x3bf7, v37
	v_add_f16_e32 v13, v91, v13
	v_fmamk_f16 v91, v76, 0xbbdd, v94
	v_mul_f16_e32 v95, 0x3bf7, v35
	v_mul_f16_e64 v85, 0x3964, v130
	v_fmamk_f16 v81, v84, 0xb8d2, v87
	v_fmamk_f16 v79, v88, 0xbacd, v75
	v_add_f16_e32 v11, v77, v11
	v_add_f16_e32 v14, v96, v14
	v_fmamk_f16 v92, v76, 0x2de8, v107
	v_add_f16_e32 v13, v91, v13
	v_fmamk_f16 v91, v74, 0x2de8, v95
	v_mul_f16_e32 v110, 0xb964, v35
	v_mul_f16_e32 v96, 0xb5c8, v118
	v_fmamk_f16 v77, v88, 0x39e9, v85
	v_add_f16_e32 v81, v81, v12
	v_add_f16_e32 v12, v79, v11
	;; [unrolled: 1-line block ×4, first 2 shown]
	v_fmamk_f16 v79, v74, 0x39e9, v110
	v_fmamk_f16 v91, v84, 0x3b76, v96
	v_mul_f16_e32 v108, 0xb1e1, v118
	v_mul_f16_e64 v97, 0xba62, v130
	v_add_f16_e32 v11, v77, v81
	v_add_f16_e32 v14, v79, v14
	;; [unrolled: 1-line block ×3, first 2 shown]
	v_fmamk_f16 v79, v84, 0xbbdd, v108
	v_fmamk_f16 v81, v88, 0xb8d2, v97
	v_lshrrev_b32_e32 v155, 16, v83
	v_mul_f16_e32 v77, 0xb5c8, v25
	v_mul_f16_e32 v91, 0xb964, v25
	v_mul_f16_e64 v109, 0x3b29, v130
	v_add_f16_e32 v98, v79, v14
	v_add_f16_e32 v14, v81, v13
	v_fma_f16 v99, v155, 0x3b76, -v77
	v_lshrrev_b32_e32 v81, 16, v0
	v_lshrrev_b32_e32 v135, 16, v71
	v_mul_f16_e32 v79, 0xb964, v31
	v_fma_f16 v100, v155, 0x39e9, -v91
	v_mul_f16_e32 v92, 0xbbf7, v31
	v_fmamk_f16 v13, v88, 0x3722, v109
	v_add_f16_e32 v101, v99, v81
	v_mul_f16_e32 v99, 0xbb29, v25
	v_fma_f16 v102, v135, 0x39e9, -v79
	v_add_f16_e32 v100, v100, v81
	v_fma_f16 v103, v135, 0x2de8, -v92
	v_mul_f16_e32 v111, 0xbbf7, v25
	v_add_f16_e32 v13, v13, v98
	v_fma_f16 v98, v155, 0x3722, -v99
	v_add_f16_e32 v102, v102, v101
	v_add_f16_e32 v103, v103, v100
	v_mul_f16_e32 v120, 0xbbb2, v25
	v_mul_f16_e32 v100, 0xba62, v31
	v_fma_f16 v101, v155, 0x2de8, -v111
	v_mul_f16_e32 v113, 0xb1e1, v31
	v_add_f16_e32 v98, v98, v81
	v_fma_f16 v104, v155, 0xb461, -v120
	v_mul_f16_e32 v121, 0x3836, v31
	v_fma_f16 v105, v135, 0xb8d2, -v100
	v_add_f16_e32 v101, v101, v81
	v_fma_f16 v112, v135, 0xbbdd, -v113
	v_mul_f16_e64 v132, 0xba62, v25
	v_mul_f16_e64 v139, 0xb836, v93
	v_add_f16_e32 v104, v104, v81
	v_fma_f16 v114, v135, 0xbacd, -v121
	v_add_f16_e32 v98, v105, v98
	v_add_f16_e32 v93, v112, v101
	v_fma_f16 v101, v155, 0xb8d2, -v132
	v_mul_f16_e64 v133, 0x3bb2, v31
	v_fma_f16 v105, 0xbacd, v83, v139
	v_mul_f16_e64 v140, 0x3b29, v90
	v_mul_f16_e64 v150, 0xb836, v25
	v_add_f16_e32 v104, v114, v104
	v_add_f16_e32 v90, v101, v81
	v_fma_f16 v101, v135, 0xb461, -v133
	v_add_f16_e32 v105, v105, v0
	v_fma_f16 v112, 0x3722, v71, v140
	v_fma_f16 v114, v155, 0xbacd, -v150
	v_mul_f16_e64 v151, 0x3b29, v31
	v_pk_mul_f16 v25, 0xb1e1, v25 op_sel_hi:[0,1]
	v_add_f16_e32 v115, v101, v90
	v_add_f16_e32 v112, v112, v105
	;; [unrolled: 1-line block ×3, first 2 shown]
	v_fma_f16 v114, v135, 0x3722, -v151
	v_pk_mul_f16 v31, 0x35c8, v31 op_sel_hi:[0,1]
	v_pk_fma_f16 v116, 0xbbdd, v83, v25 op_sel:[0,0,1] op_sel_hi:[0,1,0] neg_lo:[0,0,1] neg_hi:[0,0,1]
	v_lshrrev_b32_e32 v138, 16, v72
	v_mul_f16_e32 v90, 0xbb29, v32
	v_add_f16_e32 v117, v114, v105
	v_mul_f16_e32 v105, 0x31e1, v32
	v_pk_add_f16 v114, v116, v0
	v_pk_fma_f16 v116, 0x3b76, v71, v31 op_sel:[0,0,1] op_sel_hi:[0,1,0] neg_lo:[0,0,1] neg_hi:[0,0,1]
	v_fma_f16 v122, v138, 0x3722, -v90
	v_mul_f16_e32 v119, 0x3bb2, v32
	v_mul_f16_e32 v101, 0xba62, v32
	;; [unrolled: 1-line block ×3, first 2 shown]
	v_pk_add_f16 v116, v116, v114
	v_add_f16_e32 v102, v122, v102
	v_fma_f16 v114, v138, 0xbbdd, -v105
	v_fma_f16 v122, v138, 0xb461, -v119
	v_mul_f16_e64 v148, 0xbbf7, v38
	v_fma_f16 v123, v138, 0xb8d2, -v101
	v_mul_f16_e64 v141, 0xb5c8, v32
	v_add_f16_e32 v38, v114, v98
	v_add_f16_e32 v98, v122, v93
	v_fma_f16 v93, v138, 0x39e9, -v127
	v_fma_f16 v122, 0x2de8, v72, v148
	v_mul_f16_e64 v158, 0xbbf7, v32
	v_pk_mul_f16 v32, 0xb836, v32 op_sel_hi:[0,1]
	v_add_f16_e32 v103, v123, v103
	v_fma_f16 v114, v138, 0x3b76, -v141
	v_add_f16_e32 v124, v93, v104
	v_add_f16_e32 v112, v122, v112
	v_fma_f16 v122, v138, 0x2de8, -v158
	v_pk_fma_f16 v123, 0xbacd, v72, v32 op_sel:[0,0,1] op_sel_hi:[0,1,0] neg_lo:[0,0,1] neg_hi:[0,0,1]
	v_lshrrev_b32_e32 v142, 16, v73
	v_mul_f16_e32 v93, 0xbbf7, v33
	v_mul_f16_e32 v104, 0xb1e1, v33
	v_add_f16_e32 v115, v114, v115
	v_mul_f16_e32 v114, 0x3bb2, v33
	v_add_f16_e32 v117, v122, v117
	v_pk_add_f16 v116, v123, v116
	v_fma_f16 v122, v142, 0x2de8, -v93
	v_fma_f16 v125, v142, 0xbbdd, -v104
	v_mul_f16_e32 v123, 0x35c8, v33
	v_mul_f16_e64 v131, 0xbb29, v33
	v_fma_f16 v126, v142, 0xb461, -v114
	v_add_f16_e32 v102, v122, v102
	v_add_f16_e32 v103, v125, v103
	v_fma_f16 v122, v142, 0x3b76, -v123
	v_fma_f16 v125, v142, 0x3722, -v131
	v_mul_f16_e64 v147, 0xb836, v33
	v_mul_f16_e64 v153, 0x3a62, v82
	;; [unrolled: 1-line block ×3, first 2 shown]
	v_add_f16_e32 v38, v126, v38
	v_add_f16_e32 v82, v122, v98
	;; [unrolled: 1-line block ×3, first 2 shown]
	v_fma_f16 v124, v142, 0xbacd, -v147
	v_fma_f16 v125, 0xb8d2, v73, v153
	v_fma_f16 v126, v142, 0xb8d2, -v161
	v_pk_mul_f16 v33, 0x3964, v33 op_sel_hi:[0,1]
	v_lshrrev_b32_e32 v143, 16, v76
	v_mul_f16_e32 v98, 0xbbb2, v34
	v_add_f16_e32 v124, v124, v115
	v_add_f16_e32 v125, v125, v112
	v_add_f16_e64 v128, v126, v117
	v_pk_fma_f16 v112, 0x39e9, v73, v33 op_sel:[0,0,1] op_sel_hi:[0,1,0] neg_lo:[0,0,1] neg_hi:[0,0,1]
	v_fma_f16 v134, v143, 0xb461, -v98
	v_mul_f16_e32 v115, 0x3836, v34
	v_mul_f16_e32 v117, 0x3964, v34
	;; [unrolled: 1-line block ×3, first 2 shown]
	v_pk_add_f16 v116, v112, v116
	v_add_f16_e64 v134, v134, v102
	v_fma_f16 v102, v143, 0xbacd, -v115
	v_fma_f16 v112, v143, 0x39e9, -v117
	v_mul_f16_e64 v137, 0xb1e1, v34
	v_mul_f16_e64 v154, 0x3bf7, v34
	v_fma_f16 v136, v143, 0x3722, -v126
	v_add_f16_e32 v103, v102, v103
	v_add_f16_e32 v38, v112, v38
	v_fma_f16 v102, v143, 0xbbdd, -v137
	v_fma_f16 v112, v143, 0x2de8, -v154
	v_mul_f16_e64 v159, 0xb5c8, v37
	v_mul_f16_e64 v164, 0xb5c8, v34
	v_pk_mul_f16 v34, 0xba62, v34 op_sel_hi:[0,1]
	v_add_f16_e64 v82, v136, v82
	v_add_f16_e32 v37, v102, v122
	v_add_f16_e32 v124, v112, v124
	v_fma_f16 v122, 0x3b76, v76, v159
	v_fma_f16 v136, v143, 0x3b76, -v164
	v_pk_fma_f16 v144, 0xb8d2, v76, v34 op_sel:[0,0,1] op_sel_hi:[0,1,0] neg_lo:[0,0,1] neg_hi:[0,0,1]
	v_lshrrev_b32_e32 v145, 16, v74
	v_mul_f16_e32 v102, 0xba62, v30
	v_mul_f16_e32 v112, 0x3bb2, v30
	v_add_f16_e32 v125, v122, v125
	v_add_f16_e64 v136, v136, v128
	v_pk_add_f16 v146, v144, v116
	v_fma_f16 v116, v145, 0xb8d2, -v102
	v_fma_f16 v149, v145, 0xb461, -v112
	v_mul_f16_e32 v122, 0xb5c8, v30
	v_mul_f16_e64 v128, 0xb836, v30
	v_mul_f16_e64 v144, 0x3bf7, v30
	v_add_f16_e64 v134, v116, v134
	v_add_f16_e64 v156, v149, v103
	v_fma_f16 v103, v145, 0x3b76, -v122
	v_fma_f16 v116, v145, 0xbacd, -v128
	;; [unrolled: 1-line block ×3, first 2 shown]
	v_mul_f16_e64 v160, 0xb964, v30
	v_mul_f16_e64 v162, 0xb1e1, v35
	v_add_f16_e32 v35, v103, v38
	v_add_f16_e32 v38, v116, v82
	v_add_f16_e64 v37, v149, v37
	v_fma_f16 v82, v145, 0x39e9, -v160
	v_fma_f16 v116, 0xbbdd, v74, v162
	v_mul_f16_e64 v166, 0xb1e1, v30
	v_pk_mul_f16 v30, 0x3b29, v30 op_sel_hi:[0,1]
	v_lshrrev_b32_e32 v149, 16, v84
	v_mul_f16_e32 v103, 0xb836, v16
	v_add_f16_e32 v82, v82, v124
	v_fma_f16 v124, v145, 0xbbdd, -v166
	v_add_f16_e64 v157, v116, v125
	v_pk_fma_f16 v152, 0x3722, v74, v30 op_sel:[0,0,1] op_sel_hi:[0,1,0] neg_lo:[0,0,1] neg_hi:[0,0,1]
	v_fma_f16 v163, v149, 0xbacd, -v103
	v_mul_f16_e32 v116, 0x3b29, v16
	v_mul_f16_e32 v125, 0xbbf7, v16
	v_add_f16_e64 v124, v124, v136
	v_pk_add_f16 v146, v152, v146
	v_add_f16_e64 v167, v163, v134
	v_fma_f16 v134, v149, 0x3722, -v116
	v_mul_f16_e64 v136, 0x3a62, v16
	v_fma_f16 v165, v149, 0x2de8, -v125
	v_mul_f16_e64 v152, 0xb5c8, v16
	v_mul_f16_e64 v163, 0xb1e1, v16
	v_pk_fma_f16 v25, 0xbbdd, v83, v25 op_sel:[0,0,1] op_sel_hi:[0,1,0]
	v_add_f16_e64 v169, v134, v156
	v_fma_f16 v134, v149, 0xb8d2, -v136
	v_add_f16_e64 v35, v165, v35
	v_fma_f16 v156, v149, 0x3b76, -v152
	v_fma_f16 v170, v149, 0xbbdd, -v163
	v_mul_f16_e64 v165, 0x3964, v118
	v_mul_f16_e64 v168, 0x3964, v16
	v_pk_add_f16 v25, v25, v0
	v_pk_fma_f16 v31, 0x3b76, v71, v31 op_sel:[0,0,1] op_sel_hi:[0,1,0]
	v_add_f16_e64 v38, v134, v38
	v_add_f16_e64 v37, v156, v37
	;; [unrolled: 1-line block ×3, first 2 shown]
	v_fma_f16 v134, 0x39e9, v84, v165
	v_fma_f16 v170, v149, 0x39e9, -v168
	v_pk_mul_f16 v16, 0xbbb2, v16 op_sel_hi:[0,1]
	v_lshrrev_b32_e32 v156, 16, v88
	v_mul_f16_e64 v118, 0xb1e1, v129
	v_pk_add_f16 v25, v31, v25
	v_pk_fma_f16 v32, 0xbacd, v72, v32 op_sel:[0,0,1] op_sel_hi:[0,1,0]
	v_add_f16_e64 v171, v134, v157
	v_pk_fma_f16 v134, 0xb461, v84, v16 op_sel:[0,0,1] op_sel_hi:[0,1,0] neg_lo:[0,0,1] neg_hi:[0,0,1]
	v_add_f16_e64 v172, v170, v124
	v_fma_f16 v157, v156, 0xbbdd, -v118
	v_mul_f16_e64 v124, 0x35c8, v129
	v_pk_add_f16 v25, v32, v25
	v_pk_fma_f16 v32, 0x39e9, v73, v33 op_sel:[0,0,1] op_sel_hi:[0,1,0]
	v_pk_add_f16 v173, v134, v146
	v_mul_f16_e64 v134, 0xb836, v129
	v_add_f16_e64 v31, v157, v167
	v_fma_f16 v33, v156, 0x3b76, -v124
	v_mul_f16_e64 v146, 0x3964, v129
	v_mul_f16_e64 v157, 0xba62, v129
	v_pk_add_f16 v25, v32, v25
	v_pk_fma_f16 v34, 0xb8d2, v76, v34 op_sel:[0,0,1] op_sel_hi:[0,1,0]
	v_fma_f16 v167, v156, 0xbacd, -v134
	v_add_f16_e64 v32, v33, v169
	v_fma_f16 v169, v156, 0x39e9, -v146
	v_fma_f16 v170, v156, 0xb8d2, -v157
	v_pk_add_f16 v25, v34, v25
	v_pk_fma_f16 v30, 0x3722, v74, v30 op_sel:[0,0,1] op_sel_hi:[0,1,0]
	s_clause 0x1
	s_load_b64 s[4:5], s[0:1], 0x20
	s_load_b64 s[2:3], s[0:1], 0x8
	v_add_f16_e64 v33, v167, v35
	v_add_f16_e64 v34, v169, v38
	;; [unrolled: 1-line block ×3, first 2 shown]
	v_mul_f16_e64 v167, 0x3b29, v129
	v_mul_f16_e64 v170, 0xbbb2, v129
	v_pk_add_f16 v25, v30, v25
	v_pk_fma_f16 v16, 0xb461, v84, v16 op_sel:[0,0,1] op_sel_hi:[0,1,0]
	v_pk_mul_f16 v30, 0x3bf7, v129 op_sel_hi:[0,1]
	v_mul_f16_e64 v169, 0xbbb2, v130
	v_fma_f16 v37, v156, 0x3722, -v167
	v_fma_f16 v38, v156, 0xb461, -v170
	v_pk_add_f16 v25, v16, v25
	v_pk_fma_f16 v16, 0x2de8, v88, v30 op_sel:[0,0,1] op_sel_hi:[0,1,0] neg_lo:[0,0,1] neg_hi:[0,0,1]
	v_fma_f16 v129, 0xb461, v88, v169
	v_pk_fma_f16 v30, 0x2de8, v88, v30 op_sel:[0,0,1] op_sel_hi:[0,1,0]
	v_add_f16_e32 v37, v37, v82
	v_add_f16_e64 v38, v38, v172
	v_pk_add_f16 v82, v16, v173
	v_add_f16_e64 v16, v129, v171
	v_pk_add_f16 v25, v30, v25
	v_mul_lo_u16 v30, v28, 17
	global_wb scope:SCOPE_SE
	s_wait_kmcnt 0x0
	s_barrier_signal -1
	s_barrier_wait -1
	global_inv scope:SCOPE_SE
	s_and_saveexec_b32 s0, vcc_lo
	s_cbranch_execz .LBB0_7
; %bb.6:
	v_mul_f16_e64 v178, 0xbacd, v155
	v_mul_f16_e64 v129, 0x3b76, v83
	;; [unrolled: 1-line block ×5, first 2 shown]
	v_add_f16_e64 v150, v150, v178
	v_mul_f16_e64 v178, 0x3722, v135
	v_mul_f16_e64 v177, 0xb461, v83
	;; [unrolled: 1-line block ×3, first 2 shown]
	v_mul_f16_e32 v83, 0xbacd, v83
	v_add_f16_e64 v150, v150, v81
	v_add_f16_e64 v151, v151, v178
	v_mul_f16_e64 v178, 0x2de8, v138
	v_mul_f16_e64 v190, 0xbbdd, v145
	;; [unrolled: 1-line block ×4, first 2 shown]
	v_add_f16_e64 v150, v151, v150
	v_add_f16_e64 v151, v158, v178
	v_mul_f16_e64 v158, 0xb8d2, v142
	v_mul_f16_e64 v185, 0xb8d2, v71
	;; [unrolled: 1-line block ×4, first 2 shown]
	v_add_f16_e64 v150, v151, v150
	v_add_f16_e64 v151, v161, v158
	v_mul_f16_e64 v158, 0x3b76, v143
	v_mul_f16_e64 v189, 0xb461, v71
	v_mul_f16_e32 v71, 0x3722, v71
	v_sub_f16_e64 v83, v83, v139
	v_add_f16_e64 v150, v151, v150
	v_add_f16_e64 v151, v164, v158
	;; [unrolled: 1-line block ×3, first 2 shown]
	v_sub_f16_e64 v71, v71, v140
	v_add_f16_e32 v83, v83, v0
	v_mul_f16_e64 v130, 0x3b76, v155
	v_add_f16_e64 v150, v151, v150
	v_mul_f16_e64 v172, 0x39e9, v155
	v_mul_f16_e64 v174, 0x3722, v155
	v_add_f16_e32 v71, v71, v83
	v_mul_f16_e64 v176, 0x2de8, v155
	v_add_f16_e64 v150, v166, v150
	v_mul_f16_e64 v166, 0x2de8, v72
	v_mul_f16_e64 v179, 0xb461, v155
	;; [unrolled: 1-line block ×5, first 2 shown]
	v_sub_f16_e64 v148, v166, v148
	v_mul_f16_e64 v184, 0x2de8, v135
	v_mul_f16_e64 v186, 0xb8d2, v135
	;; [unrolled: 1-line block ×4, first 2 shown]
	v_add_f16_e64 v71, v148, v71
	v_mul_f16_e64 v148, 0xb8d2, v73
	v_mul_f16_e64 v135, 0xb461, v135
	v_add_f16_e64 v168, v168, v190
	v_add_f16_e64 v132, v132, v155
	v_mul_f16_e64 v164, 0x3722, v138
	v_sub_f16_e64 v148, v148, v153
	v_mul_f16_e64 v153, 0x3b76, v76
	v_mul_f16_e64 v139, 0xb8d2, v138
	;; [unrolled: 1-line block ×4, first 2 shown]
	v_add_f16_e64 v150, v168, v150
	v_mul_f16_e64 v168, 0xb461, v138
	v_mul_f16_e64 v155, 0x39e9, v138
	;; [unrolled: 1-line block ×3, first 2 shown]
	v_add_f16_e64 v133, v133, v135
	v_add_f16_e64 v132, v132, v81
	;; [unrolled: 1-line block ×3, first 2 shown]
	v_sub_f16_e64 v153, v153, v159
	v_add_f16_e64 v83, v170, v83
	v_add_f16_e64 v138, v141, v138
	;; [unrolled: 1-line block ×3, first 2 shown]
	v_mul_f16_e64 v133, 0xbbdd, v74
	v_add_f16_e64 v71, v153, v71
	v_mul_f16_e64 v153, 0xbacd, v142
	v_add_f16_e64 v83, v83, v150
	v_add_f16_e64 v132, v138, v132
	v_sub_f16_e64 v133, v133, v162
	v_mul_f16_e64 v150, 0x2de8, v143
	v_add_f16_e64 v147, v147, v153
	v_sub_f16_e64 v65, v180, v65
	v_mul_f16_e64 v158, 0x3722, v72
	v_add_f16_e64 v71, v133, v71
	v_mul_f16_e64 v133, 0x39e9, v84
	v_add_f16_e64 v132, v147, v132
	v_add_f16_e64 v150, v154, v150
	v_mul_f16_e64 v151, 0xb8d2, v72
	v_mul_f16_e64 v140, 0xbbdd, v72
	;; [unrolled: 1-line block ×4, first 2 shown]
	v_mul_f16_e32 v72, 0x3b76, v72
	v_sub_f16_e64 v133, v133, v165
	v_mul_f16_e64 v165, 0x39e9, v145
	v_add_f16_e64 v132, v150, v132
	v_mul_f16_e64 v150, 0xb461, v88
	v_sub_f16_e64 v67, v189, v67
	v_add_f16_e32 v65, v65, v0
	v_add_f16_e64 v120, v120, v179
	v_sub_f16_e64 v56, v177, v56
	v_mul_f16_e64 v135, 0x2de8, v73
	v_mul_f16_e64 v159, 0xbbdd, v73
	;; [unrolled: 1-line block ×5, first 2 shown]
	v_mul_f16_e32 v73, 0xbacd, v73
	v_add_f16_e64 v160, v160, v165
	v_add_f16_e64 v71, v133, v71
	v_sub_f16_e64 v150, v150, v169
	v_mul_f16_e64 v169, 0xbbdd, v149
	v_add_f16_e32 v65, v67, v65
	v_sub_f16_e32 v70, v72, v70
	v_add_f16_e64 v121, v121, v161
	v_add_f16_e32 v120, v120, v81
	v_sub_f16_e64 v60, v188, v60
	v_add_f16_e32 v56, v56, v0
	v_add_f16_e64 v111, v111, v176
	v_mul_f16_e64 v148, 0x2de8, v142
	v_mul_f16_e64 v141, 0xbbdd, v142
	;; [unrolled: 1-line block ×6, first 2 shown]
	v_add_f16_e64 v132, v160, v132
	v_mul_f16_e64 v160, 0xbacd, v76
	v_add_f16_e64 v163, v163, v169
	v_mul_f16_e64 v169, 0x39e9, v76
	;; [unrolled: 2-line block ×3, first 2 shown]
	v_mul_f16_e32 v72, 0xbbdd, v76
	v_mul_f16_e32 v76, 0x2de8, v76
	v_add_f16_e32 v65, v70, v65
	v_sub_f16_e32 v73, v73, v106
	v_add_f16_e32 v120, v121, v120
	v_add_f16_e64 v127, v127, v155
	v_add_f16_e32 v56, v60, v56
	v_sub_f16_e64 v60, v170, v61
	v_add_f16_e32 v61, v111, v81
	v_add_f16_e64 v111, v113, v187
	v_mul_f16_e64 v133, 0xb461, v143
	v_mul_f16_e64 v180, 0xbacd, v143
	;; [unrolled: 1-line block ×3, first 2 shown]
	v_add_f16_e64 v132, v163, v132
	v_mul_f16_e64 v163, 0x3722, v143
	v_mul_f16_e64 v67, 0x3722, v156
	;; [unrolled: 1-line block ×3, first 2 shown]
	v_add_f16_e32 v65, v73, v65
	v_sub_f16_e32 v76, v76, v107
	v_mul_f16_e64 v155, 0x39e9, v74
	v_add_f16_e32 v120, v127, v120
	v_add_f16_e64 v131, v131, v142
	v_add_f16_e32 v56, v60, v56
	v_sub_f16_e64 v60, v154, v69
	v_add_f16_e32 v61, v111, v61
	v_add_f16_e64 v69, v119, v168
	v_sub_f16_e64 v53, v175, v53
	v_pk_add_f16 v1, v1, v0
	v_add_f16_e64 v67, v167, v67
	v_mul_f16_e64 v167, 0xb8d2, v74
	v_mul_f16_e64 v179, 0xb461, v74
	;; [unrolled: 1-line block ×3, first 2 shown]
	v_mul_f16_e32 v107, 0xbacd, v74
	v_mul_f16_e32 v74, 0x2de8, v74
	v_add_f16_e32 v65, v76, v65
	v_sub_f16_e64 v110, v155, v110
	v_add_f16_e64 v120, v131, v120
	v_add_f16_e64 v137, v137, v143
	v_add_f16_e32 v56, v60, v56
	v_sub_f16_e32 v60, v72, v94
	v_add_f16_e32 v61, v69, v61
	v_add_f16_e64 v69, v123, v147
	v_add_f16_e32 v53, v53, v0
	v_sub_f16_e64 v54, v178, v54
	v_pk_add_f16 v1, v23, v1
	v_mul_f16_e64 v70, 0xb8d2, v145
	v_mul_f16_e64 v106, 0xb461, v145
	;; [unrolled: 1-line block ×5, first 2 shown]
	v_mul_f16_e32 v76, 0xbacd, v84
	v_mul_f16_e32 v127, 0x3722, v84
	v_add_f16_e64 v67, v67, v132
	v_mul_f16_e64 v132, 0x2de8, v84
	v_add_f16_e32 v65, v110, v65
	v_mul_f16_e32 v110, 0xbbdd, v84
	v_mul_f16_e64 v143, 0xb8d2, v84
	v_mul_f16_e32 v84, 0x3b76, v84
	v_add_f16_e64 v120, v137, v120
	v_mul_f16_e64 v137, 0x3722, v88
	v_add_f16_e32 v56, v60, v56
	v_sub_f16_e32 v60, v74, v95
	v_add_f16_e32 v61, v69, v61
	v_add_f16_e64 v69, v126, v163
	v_add_f16_e32 v53, v54, v53
	v_sub_f16_e64 v54, v166, v58
	v_pk_add_f16 v1, v24, v1
	v_sub_f16_e32 v108, v110, v108
	v_mul_f16_e64 v110, 0xb8d2, v149
	v_add_f16_e64 v144, v144, v145
	v_mul_f16_e64 v145, 0xbbdd, v88
	v_sub_f16_e64 v109, v137, v109
	v_mul_f16_e64 v137, 0x3b76, v88
	v_mul_f16_e64 v177, 0xbacd, v88
	;; [unrolled: 1-line block ×3, first 2 shown]
	v_mul_f16_e32 v88, 0xb8d2, v88
	v_add_f16_e32 v56, v60, v56
	v_sub_f16_e32 v58, v84, v96
	v_add_f16_e32 v60, v69, v61
	v_add_f16_e64 v61, v128, v121
	v_add_f16_e32 v53, v54, v53
	v_sub_f16_e64 v54, v153, v63
	v_sub_f16_e64 v44, v171, v44
	v_pk_add_f16 v1, v19, v1
	v_add_f16_e32 v56, v58, v56
	v_sub_f16_e32 v58, v88, v97
	v_add_f16_e32 v60, v61, v60
	v_add_f16_e64 v61, v136, v110
	v_add_f16_e32 v53, v54, v53
	v_sub_f16_e64 v54, v150, v86
	v_add_f16_e64 v69, v99, v174
	v_add_f16_e32 v44, v44, v0
	v_sub_f16_e64 v23, v183, v40
	v_pk_add_f16 v1, v20, v1
	v_add_f16_e32 v56, v58, v56
	v_add_f16_e32 v58, v61, v60
	v_add_f16_e32 v53, v54, v53
	v_sub_f16_e32 v54, v107, v89
	v_add_f16_e32 v60, v69, v81
	v_add_f16_e64 v61, v100, v186
	v_sub_f16_e64 v47, v173, v47
	v_add_f16_e32 v23, v23, v44
	v_sub_f16_e64 v24, v151, v43
	v_pk_add_f16 v1, v21, v1
	v_add_f16_e32 v53, v54, v53
	v_sub_f16_e64 v54, v143, v87
	v_add_f16_e32 v60, v61, v60
	v_add_f16_e64 v61, v105, v190
	v_add_f16_e32 v47, v47, v0
	v_sub_f16_e64 v51, v185, v51
	v_add_f16_e32 v23, v24, v23
	v_sub_f16_e64 v24, v159, v46
	v_add_f16_e64 v44, v77, v130
	v_sub_f16_e64 v36, v129, v36
	v_pk_add_f16 v1, v22, v1
	v_add_f16_e32 v53, v54, v53
	v_add_f16_e32 v54, v61, v60
	v_add_f16_e64 v60, v114, v138
	v_add_f16_e32 v47, v51, v47
	v_sub_f16_e64 v51, v140, v52
	v_add_f16_e64 v61, v91, v172
	v_add_f16_e32 v23, v24, v23
	v_add_f16_e32 v24, v44, v81
	v_add_f16_e64 v21, v79, v182
	v_add_f16_e32 v0, v36, v0
	v_sub_f16_e64 v36, v181, v39
	v_pk_add_f16 v1, v17, v1
	v_add_f16_e32 v54, v60, v54
	v_add_f16_e64 v60, v117, v189
	v_add_f16_e32 v47, v51, v47
	v_sub_f16_e64 v51, v162, v55
	v_add_f16_e32 v55, v61, v81
	v_add_f16_e64 v61, v92, v184
	v_add_f16_e32 v21, v21, v24
	v_add_f16_e64 v22, v90, v164
	v_add_f16_e32 v0, v36, v0
	v_sub_f16_e64 v24, v158, v42
	v_pk_add_f16 v1, v18, v1
	v_mul_f16_e64 v131, 0x2de8, v149
	v_add_f16_e32 v54, v60, v54
	v_add_f16_e32 v60, v122, v73
	;; [unrolled: 1-line block ×3, first 2 shown]
	v_sub_f16_e64 v51, v169, v68
	v_add_f16_e32 v55, v61, v55
	v_add_f16_e64 v61, v101, v139
	v_add_f16_e32 v21, v22, v21
	v_add_f16_e64 v22, v93, v148
	v_add_f16_e32 v0, v24, v0
	v_sub_f16_e64 v18, v135, v45
	v_pk_add_f16 v1, v6, v1
	v_sub_f16_e64 v52, v188, v85
	v_add_f16_e32 v54, v60, v54
	v_add_f16_e64 v60, v125, v131
	v_add_f16_e32 v47, v51, v47
	v_sub_f16_e64 v51, v161, v80
	v_add_f16_e32 v55, v61, v55
	v_add_f16_e64 v61, v104, v141
	v_add_f16_e32 v21, v22, v21
	v_add_f16_e64 v22, v98, v133
	v_add_f16_e32 v0, v18, v0
	v_sub_f16_e64 v6, v165, v48
	v_pk_add_f16 v1, v7, v1
	v_add_f16_e32 v52, v52, v53
	v_add_f16_e32 v53, v60, v54
	;; [unrolled: 1-line block ×3, first 2 shown]
	v_sub_f16_e64 v51, v132, v78
	v_add_f16_e32 v54, v61, v55
	v_add_f16_e64 v55, v115, v180
	v_sub_f16_e64 v39, v160, v50
	v_mul_f16_e64 v155, 0xbacd, v149
	v_add_f16_e32 v18, v22, v21
	v_add_f16_e32 v7, v102, v70
	;; [unrolled: 1-line block ×3, first 2 shown]
	v_sub_f16_e64 v6, v167, v49
	v_pk_add_f16 v1, v4, v1
	v_mul_f16_e64 v142, 0x3722, v149
	v_mul_f16_e64 v149, 0x3b76, v149
	v_add_f16_e32 v47, v51, v47
	v_add_f16_e32 v51, v55, v54
	;; [unrolled: 1-line block ×4, first 2 shown]
	v_sub_f16_e64 v23, v179, v59
	v_add_f16_e32 v65, v108, v65
	v_mul_f16_e64 v108, 0xbbdd, v156
	v_add_f16_e32 v4, v7, v18
	v_add_f16_e64 v7, v103, v155
	v_add_f16_e32 v0, v6, v0
	v_sub_f16_e32 v6, v76, v57
	v_pk_add_f16 v1, v5, v1
	v_add_f16_e64 v120, v144, v120
	v_mul_f16_e64 v144, 0x3b76, v156
	v_add_f16_e64 v149, v152, v149
	v_mul_f16_e64 v152, 0xbacd, v156
	v_add_f16_e32 v51, v54, v51
	v_add_f16_e64 v54, v116, v142
	v_add_f16_e32 v17, v23, v17
	v_sub_f16_e32 v21, v127, v62
	v_mul_f16_e64 v176, 0x39e9, v156
	v_mul_f16_e64 v156, 0xb8d2, v156
	v_add_f16_e32 v4, v7, v4
	v_add_f16_e32 v7, v118, v108
	;; [unrolled: 1-line block ×3, first 2 shown]
	v_pk_add_f16 v1, v2, v1
	v_sub_f16_e64 v2, v145, v64
	v_add_f16_e64 v60, v134, v152
	v_sub_f16_e64 v40, v177, v75
	v_add_f16_e32 v19, v54, v51
	v_add_f16_e64 v20, v124, v144
	v_add_f16_e32 v5, v21, v17
	v_sub_f16_e64 v6, v137, v66
	v_add_f16_e32 v65, v109, v65
	v_add_f16_e64 v109, v149, v120
	v_add_f16_e64 v111, v157, v156
	;; [unrolled: 1-line block ×3, first 2 shown]
	v_add_f16_e32 v4, v7, v4
	v_and_b32_e32 v7, 0xffff, v30
	v_pk_add_f16 v1, v3, v1
	v_add_f16_e32 v0, v2, v0
	v_add_f16_e32 v43, v60, v53
	;; [unrolled: 1-line block ×7, first 2 shown]
	v_add_lshl_u32 v5, v41, v7, 2
	v_pk_add_f16 v1, v15, v1
	v_pack_b32_f16 v0, v0, v4
	v_pack_b32_f16 v4, v40, v43
	;; [unrolled: 1-line block ×7, first 2 shown]
	ds_store_2addr_b32 v5, v1, v0 offset1:1
	ds_store_2addr_b32 v5, v2, v4 offset0:2 offset1:3
	ds_store_2addr_b32 v5, v6, v3 offset0:4 offset1:5
	;; [unrolled: 1-line block ×3, first 2 shown]
	v_bfi_b32 v0, 0xffff, v25, v82
	v_bfi_b32 v1, 0xffff, v82, v25
	v_perm_b32 v2, v37, v13, 0x5040100
	v_perm_b32 v3, v38, v16, 0x5040100
	;; [unrolled: 1-line block ×7, first 2 shown]
	ds_store_2addr_b32 v5, v1, v0 offset0:8 offset1:9
	ds_store_2addr_b32 v5, v3, v2 offset0:10 offset1:11
	;; [unrolled: 1-line block ×4, first 2 shown]
	ds_store_b32 v5, v17 offset:64
.LBB0_7:
	s_wait_alu 0xfffe
	s_or_b32 exec_lo, exec_lo, s0
	v_add_lshl_u32 v36, v41, v28, 2
	global_wb scope:SCOPE_SE
	s_wait_dscnt 0x0
	s_barrier_signal -1
	s_barrier_wait -1
	global_inv scope:SCOPE_SE
	ds_load_2addr_b32 v[2:3], v36 offset1:34
	ds_load_2addr_b32 v[6:7], v36 offset0:153 offset1:187
	ds_load_2addr_b32 v[0:1], v36 offset0:68 offset1:102
	;; [unrolled: 1-line block ×3, first 2 shown]
	v_cmp_gt_u16_e64 s0, 17, v28
	v_lshrrev_b32_e32 v17, 16, v25
	s_delay_alu instid0(VALU_DEP_2)
	s_and_saveexec_b32 s1, s0
	s_cbranch_execz .LBB0_9
; %bb.8:
	v_add_nc_u32_e32 v15, 0x200, v36
	ds_load_2addr_b32 v[24:25], v15 offset0:8 offset1:161
	s_wait_dscnt 0x0
	v_lshrrev_b32_e32 v17, 16, v24
	v_bfi_b32 v82, 0xffff, v24, v25
.LBB0_9:
	s_wait_alu 0xfffe
	s_or_b32 exec_lo, exec_lo, s1
	v_add_co_u32 v15, s1, 0xffffffef, v28
	s_wait_alu 0xf1ff
	v_add_co_ci_u32_e64 v18, null, 0, -1, s1
	v_add_nc_u16 v21, v28, 34
	v_add_nc_u16 v22, v28, 0x44
	;; [unrolled: 1-line block ×4, first 2 shown]
	v_cndmask_b32_e64 v19, v18, 0, s0
	v_and_b32_e32 v20, 0xff, v21
	v_cndmask_b32_e64 v18, v15, v28, s0
	v_and_b32_e32 v39, 0xff, v22
	v_and_b32_e32 v40, 0xff, v23
	;; [unrolled: 1-line block ×3, first 2 shown]
	v_mul_lo_u16 v15, 0xf1, v20
	v_lshlrev_b64_e32 v[19:20], 2, v[18:19]
	v_mul_lo_u16 v39, 0xf1, v39
	v_mul_lo_u16 v40, 0xf1, v40
	;; [unrolled: 1-line block ×3, first 2 shown]
	v_lshrrev_b16 v15, 12, v15
	s_wait_dscnt 0x2
	v_lshrrev_b32_e32 v55, 16, v7
	v_add_co_u32 v19, s1, s2, v19
	v_lshrrev_b16 v46, 12, v39
	v_lshrrev_b16 v47, 12, v40
	s_wait_alu 0xf1ff
	v_add_co_ci_u32_e64 v20, s1, s3, v20, s1
	v_lshrrev_b16 v39, 12, v42
	v_mul_lo_u16 v40, v15, 17
	v_mul_lo_u16 v42, v46, 17
	;; [unrolled: 1-line block ×3, first 2 shown]
	global_load_b32 v43, v[19:20], off
	v_mul_lo_u16 v39, v39, 17
	v_sub_nc_u16 v19, v21, v40
	v_sub_nc_u16 v20, v22, v42
	;; [unrolled: 1-line block ×3, first 2 shown]
	v_cmp_lt_u16_e64 s1, 16, v28
	v_sub_nc_u16 v22, v24, v39
	v_and_b32_e32 v23, 0xff, v19
	v_and_b32_e32 v20, 0xff, v20
	;; [unrolled: 1-line block ×3, first 2 shown]
	s_wait_alu 0xf1ff
	v_cndmask_b32_e64 v48, 0, 34, s1
	v_and_b32_e32 v39, 0xff, v22
	v_lshlrev_b32_e32 v22, 2, v23
	v_lshlrev_b32_e32 v23, 2, v20
	;; [unrolled: 1-line block ×3, first 2 shown]
	v_and_b32_e32 v46, 0xffff, v46
	v_lshlrev_b32_e32 v40, 2, v39
	s_clause 0x3
	global_load_b32 v45, v22, s[2:3]
	global_load_b32 v44, v23, s[2:3]
	;; [unrolled: 1-line block ×4, first 2 shown]
	v_and_b32_e32 v47, 0xffff, v47
	v_lshrrev_b32_e32 v23, 16, v6
	v_add_nc_u32_e32 v18, v18, v48
	v_mad_u16 v15, v15, 34, v19
	v_mul_u32_u24_e32 v19, 34, v46
	v_mul_u32_u24_e32 v47, 34, v47
	v_lshrrev_b32_e32 v22, 16, v2
	v_add_lshl_u32 v46, v41, v18, 2
	v_and_b32_e32 v15, 0xff, v15
	v_add_nc_u32_e32 v18, v19, v20
	v_add_nc_u32_e32 v19, v47, v21
	s_wait_dscnt 0x0
	v_lshrrev_b32_e32 v57, 16, v4
	v_lshrrev_b32_e32 v59, 16, v5
	v_add_lshl_u32 v48, v41, v15, 2
	v_add_lshl_u32 v49, v41, v18, 2
	;; [unrolled: 1-line block ×3, first 2 shown]
	s_load_b128 s[4:7], s[4:5], 0x0
	v_lshrrev_b32_e32 v60, 16, v82
	v_lshrrev_b32_e32 v24, 16, v3
	;; [unrolled: 1-line block ×4, first 2 shown]
	global_wb scope:SCOPE_SE
	s_wait_loadcnt 0x0
	s_wait_kmcnt 0x0
	s_barrier_signal -1
	s_barrier_wait -1
	global_inv scope:SCOPE_SE
	v_lshrrev_b32_e32 v52, 16, v43
	s_delay_alu instid0(VALU_DEP_1) | instskip(SKIP_1) | instid1(VALU_DEP_2)
	v_mul_f16_e32 v20, v23, v52
	v_mul_f16_e32 v21, v6, v52
	v_fma_f16 v6, v6, v43, -v20
	s_delay_alu instid0(VALU_DEP_2) | instskip(NEXT) | instid1(VALU_DEP_2)
	v_fmac_f16_e32 v21, v23, v43
	v_sub_f16_e32 v6, v2, v6
	s_delay_alu instid0(VALU_DEP_2)
	v_sub_f16_e32 v15, v22, v21
	v_lshrrev_b32_e32 v54, 16, v45
	v_lshrrev_b32_e32 v53, 16, v44
	;; [unrolled: 1-line block ×3, first 2 shown]
	v_fma_f16 v2, v2, 2.0, -v6
	v_fma_f16 v18, v22, 2.0, -v15
	v_pack_b32_f16 v6, v6, v15
	v_mul_f16_e32 v15, v55, v54
	v_mul_f16_e32 v19, v7, v54
	;; [unrolled: 1-line block ×6, first 2 shown]
	v_lshrrev_b32_e32 v47, 16, v40
	v_fma_f16 v7, v7, v45, -v15
	v_fmac_f16_e32 v19, v55, v45
	v_fma_f16 v4, v4, v44, -v20
	v_fmac_f16_e32 v21, v57, v44
	;; [unrolled: 2-line block ×3, first 2 shown]
	v_mul_f16_e32 v61, v60, v47
	v_mul_f16_e32 v62, v25, v47
	v_pack_b32_f16 v2, v2, v18
	v_sub_f16_e32 v7, v3, v7
	v_sub_f16_e32 v18, v24, v19
	;; [unrolled: 1-line block ×6, first 2 shown]
	v_fma_f16 v15, v25, v40, -v61
	v_fmac_f16_e32 v62, v60, v40
	v_fma_f16 v3, v3, 2.0, -v7
	v_fma_f16 v21, v24, 2.0, -v18
	;; [unrolled: 1-line block ×6, first 2 shown]
	v_sub_f16_e32 v15, v82, v15
	v_sub_f16_e32 v63, v17, v62
	v_pack_b32_f16 v7, v7, v18
	v_pack_b32_f16 v3, v3, v21
	;; [unrolled: 1-line block ×6, first 2 shown]
	ds_store_2addr_b32 v46, v2, v6 offset1:17
	ds_store_2addr_b32 v48, v3, v7 offset1:17
	;; [unrolled: 1-line block ×4, first 2 shown]
	s_and_saveexec_b32 s1, s0
	s_cbranch_execz .LBB0_11
; %bb.10:
	v_fma_f16 v0, v82, 2.0, -v15
	v_fma_f16 v1, v17, 2.0, -v63
	v_add_lshl_u32 v2, v41, v39, 2
	v_perm_b32 v3, v63, v15, 0x5040100
	s_delay_alu instid0(VALU_DEP_3) | instskip(NEXT) | instid1(VALU_DEP_3)
	v_pack_b32_f16 v0, v0, v1
	v_add_nc_u32_e32 v1, 0x400, v2
	ds_store_2addr_b32 v1, v0, v3 offset0:16 offset1:33
.LBB0_11:
	s_wait_alu 0xfffe
	s_or_b32 exec_lo, exec_lo, s1
	v_lshlrev_b32_e32 v4, 5, v28
	global_wb scope:SCOPE_SE
	s_wait_dscnt 0x0
	s_barrier_signal -1
	s_barrier_wait -1
	global_inv scope:SCOPE_SE
	s_clause 0x1
	global_load_b128 v[0:3], v4, s[2:3] offset:68
	global_load_b128 v[4:7], v4, s[2:3] offset:84
	ds_load_2addr_b32 v[18:19], v36 offset1:34
	ds_load_2addr_b32 v[20:21], v36 offset0:68 offset1:102
	ds_load_2addr_b32 v[22:23], v36 offset0:136 offset1:170
	;; [unrolled: 1-line block ×3, first 2 shown]
	ds_load_b32 v17, v36 offset:1088
	v_lshl_add_u32 v25, v28, 2, v29
	s_delay_alu instid0(VALU_DEP_1)
	v_add_nc_u32_e32 v73, 0x200, v25
	s_wait_dscnt 0x4
	v_lshrrev_b32_e32 v24, 16, v19
	s_wait_dscnt 0x3
	v_lshrrev_b32_e32 v62, 16, v20
	;; [unrolled: 2-line block ×3, first 2 shown]
	v_lshrrev_b32_e32 v68, 16, v23
	s_wait_dscnt 0x1
	v_lshrrev_b32_e32 v70, 16, v65
	s_wait_dscnt 0x0
	v_lshrrev_b32_e32 v72, 16, v17
	v_lshrrev_b32_e32 v66, 16, v21
	;; [unrolled: 1-line block ×4, first 2 shown]
	s_wait_loadcnt 0x1
	v_lshrrev_b32_e32 v61, 16, v0
	v_lshrrev_b32_e32 v60, 16, v1
	v_lshrrev_b32_e32 v58, 16, v3
	s_wait_loadcnt 0x0
	v_lshrrev_b32_e32 v57, 16, v4
	v_lshrrev_b32_e32 v55, 16, v6
	;; [unrolled: 1-line block ×5, first 2 shown]
	v_mul_f16_e32 v74, v24, v61
	v_mul_f16_e32 v75, v19, v61
	;; [unrolled: 1-line block ×16, first 2 shown]
	v_fma_f16 v19, v19, v0, -v74
	v_fmac_f16_e32 v75, v24, v0
	v_fma_f16 v20, v20, v1, -v76
	v_fmac_f16_e32 v77, v62, v1
	v_fma_f16 v22, v22, v3, -v80
	v_fma_f16 v23, v23, v4, -v82
	;; [unrolled: 1-line block ×3, first 2 shown]
	v_fmac_f16_e32 v89, v72, v7
	v_fma_f16 v62, v65, v6, -v86
	v_fmac_f16_e32 v87, v70, v6
	v_fma_f16 v21, v21, v2, -v78
	v_fmac_f16_e32 v79, v66, v2
	v_fmac_f16_e32 v81, v67, v3
	;; [unrolled: 1-line block ×3, first 2 shown]
	v_fma_f16 v24, v64, v5, -v84
	v_fmac_f16_e32 v85, v69, v5
	v_add_f16_e32 v66, v19, v17
	v_add_f16_e32 v68, v75, v89
	;; [unrolled: 1-line block ×4, first 2 shown]
	v_sub_f16_e32 v19, v19, v17
	v_sub_f16_e32 v64, v22, v23
	v_add_f16_e32 v72, v21, v24
	v_add_f16_e32 v74, v79, v85
	v_sub_f16_e32 v70, v75, v89
	v_sub_f16_e32 v20, v20, v62
	;; [unrolled: 1-line block ×4, first 2 shown]
	v_add_f16_e32 v76, v22, v23
	v_add_f16_e32 v77, v81, v83
	v_mul_f16_e32 v78, 0x3924, v19
	v_mul_f16_e32 v84, 0xb924, v64
	v_add_f16_e32 v90, v67, v66
	v_add_f16_e32 v91, v69, v68
	v_mul_f16_e32 v92, 0x3be1, v64
	v_sub_f16_e32 v21, v21, v24
	v_sub_f16_e32 v24, v79, v85
	v_mul_f16_e32 v85, 0xb924, v75
	v_fmac_f16_e32 v78, 0x3be1, v20
	v_fmac_f16_e32 v84, 0x3be1, v19
	v_add_f16_e32 v94, v76, v90
	v_add_f16_e32 v95, v77, v91
	v_fma_f16 v92, v20, 0xb924, -v92
	v_add_f16_e32 v90, v72, v90
	v_add_f16_e32 v91, v74, v91
	;; [unrolled: 1-line block ×3, first 2 shown]
	v_fmac_f16_e32 v85, 0x3be1, v70
	v_fmac_f16_e32 v78, 0x3aee, v21
	;; [unrolled: 1-line block ×4, first 2 shown]
	v_add_f16_e32 v21, v22, v90
	v_add_f16_e32 v22, v81, v91
	v_mul_f16_e32 v79, 0x3924, v70
	v_add_f16_e32 v89, v75, v70
	v_mul_f16_e32 v93, 0x3be1, v75
	v_sub_f16_e32 v88, v88, v20
	v_fmac_f16_e32 v85, 0xbaee, v24
	v_fmac_f16_e32 v84, 0x3579, v20
	v_add_f16_e32 v20, v23, v21
	v_add_f16_e32 v21, v83, v22
	v_fmamk_f16 v80, v66, 0x3a21, v18
	v_fmamk_f16 v82, v68, 0x3a21, v71
	;; [unrolled: 1-line block ×4, first 2 shown]
	v_add_f16_e32 v17, v72, v18
	v_add_f16_e32 v65, v74, v71
	v_fmac_f16_e32 v79, 0x3be1, v62
	v_sub_f16_e32 v89, v89, v62
	v_fma_f16 v93, v62, 0xb924, -v93
	v_fmac_f16_e32 v78, 0x3579, v64
	v_fmac_f16_e32 v85, 0x3579, v62
	v_add_f16_e32 v62, v20, v18
	v_add_f16_e32 v64, v21, v71
	v_fmac_f16_e32 v18, 0x3a21, v67
	v_fmac_f16_e32 v71, 0x3a21, v69
	;; [unrolled: 1-line block ×9, first 2 shown]
	v_fmac_f16_e32 v80, -0.5, v72
	v_fmac_f16_e32 v82, -0.5, v74
	;; [unrolled: 1-line block ×4, first 2 shown]
	v_fmac_f16_e32 v93, 0x3aee, v24
	v_fmac_f16_e32 v18, -0.5, v72
	v_fmac_f16_e32 v71, -0.5, v74
	v_fmac_f16_e32 v79, 0x3579, v75
	v_fmac_f16_e32 v80, 0xbb84, v76
	;; [unrolled: 1-line block ×5, first 2 shown]
	v_fmac_f16_e32 v17, -0.5, v94
	v_fmac_f16_e32 v65, -0.5, v95
	v_fmac_f16_e32 v92, 0x3579, v19
	v_fmac_f16_e32 v93, 0x3579, v70
	;; [unrolled: 1-line block ×4, first 2 shown]
	v_add_f16_e32 v23, v79, v80
	v_sub_f16_e32 v70, v82, v78
	v_add_f16_e32 v24, v85, v86
	v_sub_f16_e32 v69, v87, v84
	v_mul_f16_e32 v96, 0x3aee, v88
	v_mul_f16_e32 v97, 0x3aee, v89
	v_fmac_f16_e32 v17, 0x3aee, v89
	v_fmac_f16_e32 v65, 0xbaee, v88
	v_add_f16_e32 v18, v93, v18
	v_sub_f16_e32 v71, v71, v92
	v_fma_f16 v22, -2.0, v79, v23
	v_fma_f16 v66, 2.0, v78, v70
	v_fma_f16 v21, -2.0, v85, v24
	v_fma_f16 v68, 2.0, v84, v69
	;; [unrolled: 2-line block ×4, first 2 shown]
	v_pack_b32_f16 v75, v62, v64
	v_pack_b32_f16 v76, v23, v70
	;; [unrolled: 1-line block ×9, first 2 shown]
	ds_store_b32 v25, v75
	ds_store_2addr_b32 v25, v76, v77 offset0:34 offset1:68
	ds_store_2addr_b32 v73, v79, v80 offset0:110 offset1:144
	;; [unrolled: 1-line block ×4, first 2 shown]
	global_wb scope:SCOPE_SE
	s_wait_dscnt 0x0
	s_barrier_signal -1
	s_barrier_wait -1
	global_inv scope:SCOPE_SE
	s_and_saveexec_b32 s1, vcc_lo
	s_cbranch_execz .LBB0_13
; %bb.12:
	global_load_b32 v73, v27, s[12:13] offset:1224
	s_add_nc_u64 s[2:3], s[12:13], 0x4c8
	s_clause 0xf
	global_load_b32 v89, v27, s[2:3] offset:72
	global_load_b32 v90, v27, s[2:3] offset:144
	;; [unrolled: 1-line block ×16, first 2 shown]
	ds_load_b32 v74, v25
	v_add_nc_u32_e32 v105, 0x400, v25
	s_wait_dscnt 0x0
	v_lshrrev_b32_e32 v75, 16, v74
	s_wait_loadcnt 0xf
	v_lshrrev_b32_e32 v106, 16, v89
	s_wait_loadcnt 0xe
	v_lshrrev_b32_e32 v107, 16, v90
	s_wait_loadcnt 0xd
	v_lshrrev_b32_e32 v108, 16, v91
	s_wait_loadcnt 0xc
	v_lshrrev_b32_e32 v109, 16, v92
	s_wait_loadcnt 0xb
	v_lshrrev_b32_e32 v110, 16, v93
	s_wait_loadcnt 0xa
	v_lshrrev_b32_e32 v111, 16, v94
	s_wait_loadcnt 0x9
	v_lshrrev_b32_e32 v112, 16, v95
	s_wait_loadcnt 0x8
	v_lshrrev_b32_e32 v113, 16, v96
	s_wait_loadcnt 0x7
	v_lshrrev_b32_e32 v114, 16, v97
	s_wait_loadcnt 0x6
	v_lshrrev_b32_e32 v115, 16, v98
	s_wait_loadcnt 0x5
	v_lshrrev_b32_e32 v116, 16, v99
	s_wait_loadcnt 0x4
	v_lshrrev_b32_e32 v117, 16, v100
	v_lshrrev_b32_e32 v76, 16, v73
	s_wait_loadcnt 0x3
	v_lshrrev_b32_e32 v118, 16, v101
	s_wait_loadcnt 0x2
	;; [unrolled: 2-line block ×4, first 2 shown]
	v_lshrrev_b32_e32 v121, 16, v104
	v_mul_f16_e32 v77, v75, v76
	v_mul_f16_e32 v76, v74, v76
	s_delay_alu instid0(VALU_DEP_2) | instskip(NEXT) | instid1(VALU_DEP_2)
	v_fma_f16 v74, v74, v73, -v77
	v_fmac_f16_e32 v76, v75, v73
	s_delay_alu instid0(VALU_DEP_1)
	v_pack_b32_f16 v73, v74, v76
	ds_store_b32 v25, v73
	ds_load_2addr_b32 v[73:74], v25 offset0:18 offset1:36
	ds_load_2addr_b32 v[75:76], v25 offset0:54 offset1:72
	;; [unrolled: 1-line block ×8, first 2 shown]
	s_wait_dscnt 0x7
	v_lshrrev_b32_e32 v122, 16, v73
	v_lshrrev_b32_e32 v124, 16, v74
	s_wait_dscnt 0x6
	v_lshrrev_b32_e32 v126, 16, v75
	v_lshrrev_b32_e32 v128, 16, v76
	;; [unrolled: 3-line block ×5, first 2 shown]
	v_mul_f16_e32 v123, v73, v106
	v_mul_f16_e32 v125, v74, v107
	s_wait_dscnt 0x2
	v_lshrrev_b32_e32 v142, 16, v83
	v_lshrrev_b32_e32 v144, 16, v84
	s_wait_dscnt 0x1
	v_lshrrev_b32_e32 v146, 16, v85
	v_lshrrev_b32_e32 v148, 16, v86
	s_wait_dscnt 0x0
	v_lshrrev_b32_e32 v150, 16, v87
	v_lshrrev_b32_e32 v152, 16, v88
	v_mul_f16_e32 v106, v122, v106
	v_mul_f16_e32 v107, v124, v107
	;; [unrolled: 1-line block ×3, first 2 shown]
	v_mul_f16_e64 v129, v76, v109
	v_mul_f16_e32 v108, v126, v108
	v_mul_f16_e64 v109, v128, v109
	v_mul_f16_e64 v131, v77, v110
	;; [unrolled: 1-line block ×19, first 2 shown]
	v_fmac_f16_e32 v123, v122, v89
	v_fmac_f16_e32 v125, v124, v90
	v_mul_f16_e64 v116, v142, v116
	v_mul_f16_e64 v117, v144, v117
	;; [unrolled: 1-line block ×6, first 2 shown]
	v_fma_f16 v73, v73, v89, -v106
	v_fma_f16 v74, v74, v90, -v107
	v_fmac_f16_e32 v127, v126, v91
	v_fmac_f16_e64 v129, v128, v92
	v_fma_f16 v75, v75, v91, -v108
	v_fma_f16 v76, v76, v92, -v109
	v_fmac_f16_e64 v131, v130, v93
	v_fmac_f16_e64 v133, v132, v94
	v_fma_f16 v77, v77, v93, -v110
	v_fma_f16 v78, v78, v94, -v111
	v_fmac_f16_e64 v135, v134, v95
	;; [unrolled: 4-line block ×4, first 2 shown]
	v_fmac_f16_e64 v145, v144, v100
	v_fmac_f16_e64 v147, v146, v101
	;; [unrolled: 1-line block ×5, first 2 shown]
	v_fma_f16 v83, v83, v99, -v116
	v_fma_f16 v84, v84, v100, -v117
	;; [unrolled: 1-line block ×6, first 2 shown]
	v_pack_b32_f16 v73, v73, v123
	v_pack_b32_f16 v74, v74, v125
	;; [unrolled: 1-line block ×16, first 2 shown]
	ds_store_2addr_b32 v25, v73, v74 offset0:18 offset1:36
	ds_store_2addr_b32 v25, v75, v76 offset0:54 offset1:72
	;; [unrolled: 1-line block ×8, first 2 shown]
.LBB0_13:
	s_wait_alu 0xfffe
	s_or_b32 exec_lo, exec_lo, s1
	global_wb scope:SCOPE_SE
	s_wait_dscnt 0x0
	s_barrier_signal -1
	s_barrier_wait -1
	global_inv scope:SCOPE_SE
	s_and_saveexec_b32 s1, vcc_lo
	s_cbranch_execz .LBB0_15
; %bb.14:
	v_add_nc_u32_e32 v9, 0x400, v25
	ds_load_b32 v62, v25
	ds_load_2addr_b32 v[23:24], v25 offset0:18 offset1:36
	ds_load_2addr_b32 v[17:18], v25 offset0:54 offset1:72
	;; [unrolled: 1-line block ×8, first 2 shown]
	s_wait_dscnt 0x8
	v_lshrrev_b32_e32 v64, 16, v62
	s_wait_dscnt 0x7
	v_lshrrev_b32_e32 v70, 16, v23
	v_lshrrev_b32_e32 v69, 16, v24
	s_wait_dscnt 0x6
	v_lshrrev_b32_e32 v65, 16, v17
	;; [unrolled: 3-line block ×8, first 2 shown]
	v_lshrrev_b32_e32 v31, 16, v10
.LBB0_15:
	s_wait_alu 0xfffe
	s_or_b32 exec_lo, exec_lo, s1
	s_delay_alu instid0(VALU_DEP_1)
	v_add_f16_e32 v106, v31, v70
	v_sub_f16_e32 v101, v70, v31
	v_sub_f16_e32 v79, v23, v10
	v_add_f16_e32 v108, v32, v69
	v_add_f16_e32 v77, v10, v23
	v_mul_f16_e32 v74, 0xbbdd, v106
	v_mul_f16_e32 v73, 0xb1e1, v101
	v_sub_f16_e32 v102, v69, v32
	v_sub_f16_e32 v81, v24, v9
	v_mul_f16_e32 v83, 0x3b76, v108
	v_fmamk_f16 v80, v79, 0x31e1, v74
	v_add_f16_e32 v78, v9, v24
	v_fmamk_f16 v75, v77, 0xbbdd, v73
	v_mul_f16_e32 v76, 0x35c8, v102
	v_fmamk_f16 v84, v81, 0xb5c8, v83
	v_add_f16_e32 v80, v64, v80
	v_sub_f16_e32 v100, v65, v33
	v_fma_f16 v73, v77, 0xbbdd, -v73
	v_add_f16_e32 v75, v62, v75
	v_fmac_f16_e32 v74, 0xb1e1, v79
	v_fmamk_f16 v82, v78, 0x3b76, v76
	v_add_f16_e32 v84, v84, v80
	v_add_f16_e32 v80, v12, v17
	;; [unrolled: 1-line block ×3, first 2 shown]
	v_mul_f16_e32 v85, 0xb836, v100
	v_add_f16_e32 v73, v62, v73
	v_add_f16_e32 v74, v64, v74
	;; [unrolled: 1-line block ×3, first 2 shown]
	v_fma_f16 v76, v78, 0x3b76, -v76
	v_fmac_f16_e32 v83, 0x35c8, v81
	v_sub_f16_e32 v82, v17, v12
	v_mul_f16_e32 v86, 0xbacd, v120
	v_fmamk_f16 v87, v80, 0xbacd, v85
	v_sub_f16_e32 v103, v71, v34
	v_add_f16_e32 v73, v76, v73
	v_add_f16_e32 v74, v83, v74
	v_fmamk_f16 v76, v82, 0x3836, v86
	v_add_f16_e32 v75, v87, v75
	v_add_f16_e32 v83, v11, v18
	v_mul_f16_e32 v87, 0x3964, v103
	v_add_f16_e64 v134, v34, v71
	v_add_f16_e32 v76, v76, v84
	v_fmac_f16_e32 v86, 0xb836, v82
	v_sub_f16_e32 v84, v18, v11
	v_fmamk_f16 v88, v83, 0x39e9, v87
	v_mul_f16_e64 v89, 0x39e9, v134
	v_add_f16_e64 v148, v35, v72
	v_fma_f16 v85, v80, 0xbacd, -v85
	v_add_f16_e32 v74, v86, v74
	v_add_f16_e32 v75, v88, v75
	v_sub_f16_e32 v105, v72, v35
	v_fmamk_f16 v88, v84, 0xb964, v89
	v_sub_f16_e32 v86, v19, v14
	v_mul_f16_e64 v91, 0xb8d2, v148
	v_add_f16_e32 v73, v85, v73
	v_add_f16_e32 v85, v14, v19
	v_mul_f16_e32 v90, 0xba62, v105
	v_fma_f16 v87, v83, 0x39e9, -v87
	v_add_f16_e32 v76, v88, v76
	v_fmac_f16_e32 v89, 0x3964, v84
	v_fmamk_f16 v92, v86, 0x3a62, v91
	v_sub_f16_e32 v107, v67, v37
	v_fmamk_f16 v88, v85, 0xb8d2, v90
	v_add_f16_e32 v73, v87, v73
	v_add_f16_e32 v74, v89, v74
	;; [unrolled: 1-line block ×4, first 2 shown]
	v_mul_f16_e32 v92, 0x3b29, v107
	v_add_f16_e64 v167, v37, v67
	v_fma_f16 v89, v85, 0xb8d2, -v90
	v_sub_f16_e32 v111, v68, v38
	v_add_f16_e32 v75, v88, v75
	v_fmac_f16_e32 v91, 0xba62, v86
	v_sub_f16_e32 v88, v20, v13
	v_fmamk_f16 v90, v87, 0x3722, v92
	v_mul_f16_e64 v93, 0x3722, v167
	v_add_f16_e32 v73, v89, v73
	v_add_f16_e32 v89, v16, v21
	v_mul_f16_e32 v94, 0xbbb2, v111
	v_add_f16_e64 v151, v38, v68
	v_add_f16_e32 v74, v91, v74
	v_add_f16_e32 v75, v90, v75
	v_fmamk_f16 v91, v88, 0xbb29, v93
	v_fma_f16 v92, v87, 0x3722, -v92
	v_fmac_f16_e32 v93, 0x3b29, v88
	v_sub_f16_e32 v90, v21, v16
	v_fmamk_f16 v95, v89, 0xb461, v94
	v_mul_f16_e64 v96, 0xb461, v151
	v_sub_f16_e32 v127, v66, v63
	v_add_f16_e64 v141, v63, v66
	v_add_f16_e32 v76, v91, v76
	v_add_f16_e32 v73, v92, v73
	;; [unrolled: 1-line block ×4, first 2 shown]
	v_fmamk_f16 v93, v90, 0x3bb2, v96
	v_fma_f16 v94, v89, 0xb461, -v94
	v_fmac_f16_e32 v96, 0xbbb2, v90
	v_add_f16_e32 v91, v15, v22
	v_sub_f16_e32 v92, v22, v15
	v_mul_f16_e32 v95, 0x3bf7, v127
	v_mul_f16_e64 v97, 0x2de8, v141
	v_add_f16_e32 v76, v93, v76
	v_add_f16_e32 v93, v94, v73
	;; [unrolled: 1-line block ×3, first 2 shown]
	v_fmamk_f16 v73, v91, 0x2de8, v95
	v_fmamk_f16 v74, v92, 0xbbf7, v97
	v_fma_f16 v95, v91, 0x2de8, -v95
	v_fmac_f16_e32 v97, 0x3bf7, v92
	global_wb scope:SCOPE_SE
	v_add_f16_e32 v73, v73, v75
	v_add_f16_e32 v74, v74, v76
	;; [unrolled: 1-line block ×4, first 2 shown]
	s_barrier_signal -1
	s_barrier_wait -1
	global_inv scope:SCOPE_SE
	s_and_saveexec_b32 s1, vcc_lo
	s_cbranch_execz .LBB0_17
; %bb.16:
	v_mul_f16_e64 v139, 0xbacd, v106
	v_mul_f16_e32 v126, 0x3722, v108
	v_mul_f16_e32 v121, 0x2de8, v120
	v_mul_f16_e64 v118, 0xb8d2, v134
	v_mul_f16_e64 v142, 0xb836, v101
	v_fma_f16 v93, 0x3836, v79, v139
	v_fmamk_f16 v94, v81, 0xbb29, v126
	v_fmamk_f16 v95, v82, 0x3bf7, v121
	v_mul_f16_e64 v117, 0x3b76, v148
	v_mul_f16_e64 v140, 0x3b29, v102
	v_add_f16_e32 v93, v64, v93
	v_fmamk_f16 v96, v84, 0xba62, v118
	v_mul_f16_e64 v116, 0xbbdd, v167
	v_mul_f16_e64 v138, 0xbbf7, v100
	v_fmamk_f16 v97, v86, 0x35c8, v117
	v_add_f16_e32 v93, v94, v93
	v_fma_f16 v94, 0xbacd, v77, v142
	v_mul_f16_e64 v112, 0x39e9, v151
	v_mul_f16_e64 v137, 0x3a62, v103
	;; [unrolled: 1-line block ×3, first 2 shown]
	v_add_f16_e32 v93, v95, v93
	v_fma_f16 v95, 0x3722, v78, v140
	v_add_f16_e32 v94, v62, v94
	v_mul_f16_e64 v129, 0xb5c8, v105
	v_mul_f16_e32 v119, 0xb8d2, v106
	v_add_f16_e32 v93, v96, v93
	v_fma_f16 v96, 0x2de8, v80, v138
	v_add_f16_e32 v94, v95, v94
	v_fmamk_f16 v95, v88, 0x31e1, v116
	v_mul_f16_e64 v130, 0xb1e1, v107
	v_add_f16_e32 v93, v97, v93
	v_fma_f16 v97, 0xb8d2, v83, v137
	v_add_f16_e32 v94, v96, v94
	v_fmamk_f16 v96, v90, 0xb964, v112
	v_fma_f16 v98, 0x3b76, v85, v129
	v_add_f16_e32 v93, v95, v93
	v_fmamk_f16 v95, v92, 0x3bb2, v110
	v_add_f16_e32 v94, v97, v94
	v_fmamk_f16 v97, v79, 0x3a62, v119
	v_mul_f16_e32 v113, 0xb461, v108
	v_add_f16_e32 v93, v96, v93
	v_mul_f16_e64 v135, 0x3964, v111
	v_fma_f16 v96, 0xbbdd, v87, v130
	v_add_f16_e32 v94, v98, v94
	v_add_f16_e32 v97, v64, v97
	v_add_f16_e32 v93, v95, v93
	v_fmamk_f16 v95, v81, 0xbbb2, v113
	v_mul_f16_e32 v114, 0x3b76, v120
	v_add_f16_e32 v94, v96, v94
	v_fma_f16 v96, 0x39e9, v89, v135
	v_mul_f16_e64 v131, 0xbbb2, v127
	v_add_f16_e32 v95, v95, v97
	v_fmamk_f16 v97, v82, 0x35c8, v114
	v_mul_f16_e64 v115, 0xbacd, v134
	v_add_f16_e32 v94, v96, v94
	v_fma_f16 v96, 0xb461, v91, v131
	v_mul_f16_e64 v155, 0xba62, v101
	v_add_f16_e32 v95, v97, v95
	v_fmamk_f16 v97, v84, 0x3836, v115
	v_mul_f16_e64 v122, 0x2de8, v148
	;; [unrolled: 6-line block ×6, first 2 shown]
	v_add_f16_e32 v96, v98, v96
	v_fma_f16 v98, 0x2de8, v85, v145
	v_mul_f16_e64 v152, 0xb964, v107
	v_add_f16_e32 v95, v97, v95
	v_fma_f16 v97, 0x3bb2, v79, v168
	v_mul_f16_e64 v169, 0xbacd, v108
	;; [unrolled: 3-line block ×28, first 2 shown]
	v_add_f16_e64 v104, v133, v104
	v_fma_f16 v133, 0xb461, v80, v188
	v_mul_f16_e64 v192, 0x35c8, v103
	v_add_f16_e32 v99, v109, v99
	v_fma_f16 v109, 0xba62, v90, v181
	v_mul_f16_e64 v176, 0x39e9, v141
	v_add_f16_e64 v104, v133, v104
	v_fma_f16 v133, 0x3b76, v83, v192
	v_mul_f16_e64 v193, 0xbb29, v105
	v_add_f16_e32 v99, v109, v99
	v_fma_f16 v109, 0xb964, v92, v176
	v_mul_f16_e64 v172, 0x3722, v106
	;; [unrolled: 6-line block ×4, first 2 shown]
	v_add_f16_e64 v104, v133, v104
	v_fma_f16 v133, 0xb8d2, v89, v202
	v_mul_f16_e64 v183, 0x3964, v127
	v_add_f16_e64 v109, v159, v109
	v_fma_f16 v166, 0xb1e1, v82, v158
	v_mul_f16_e64 v159, 0xb461, v134
	;; [unrolled: 3-line block ×28, first 2 shown]
	v_add_f16_e64 v106, v205, v106
	v_fma_f16 v207, 0xbacd, v85, v194
	v_mul_f16_e32 v108, 0x3bb2, v107
	v_add_f16_e64 v206, v64, v206
	v_fma_f16 v217, 0x3964, v81, v203
	v_mul_f16_e64 v205, 0x3722, v120
	v_add_f16_e64 v207, v207, v106
	v_fma_f16 v218, 0xb461, v87, v108
	v_mul_f16_e32 v120, 0x3b29, v111
	v_add_f16_e64 v217, v217, v206
	v_fma_f16 v219, 0x3b29, v82, v205
	v_mul_f16_e64 v206, 0x2de8, v134
	v_mul_f16_e64 v106, 0x3b76, v141
	v_add_f16_e64 v218, v218, v207
	v_fma_f16 v220, 0x3722, v89, v120
	v_add_f16_e64 v217, v219, v217
	v_fma_f16 v219, 0x3bf7, v84, v206
	v_mul_f16_e64 v207, 0xb461, v148
	v_mul_f16_e64 v134, 0x35c8, v127
	v_fma_f16 v148, 0xb5c8, v92, v106
	v_add_f16_e64 v218, v220, v218
	v_add_f16_e64 v217, v219, v217
	v_fma_f16 v219, 0x3bb2, v86, v207
	v_mul_f16_e64 v167, 0xb8d2, v167
	v_fma_f16 v220, 0x3b76, v91, v134
	v_mul_f16_e64 v221, 0xb5c8, v101
	v_add_f16_e32 v23, v23, v62
	v_add_f16_e64 v101, v148, v216
	v_add_f16_e64 v216, v219, v217
	v_fma_f16 v217, 0x3a62, v88, v167
	v_add_f16_e64 v148, v220, v218
	v_fma_f16 v218, 0x3b76, v77, v221
	v_mul_f16_e32 v102, 0xb964, v102
	v_add_f16_e32 v23, v24, v23
	v_add_f16_e32 v24, v70, v64
	v_add_f16_e64 v216, v217, v216
	v_add_f16_e64 v217, v62, v218
	v_fma_f16 v218, 0x39e9, v78, v102
	v_mul_f16_e32 v70, 0xbb29, v100
	v_add_f16_e32 v17, v17, v23
	v_add_f16_e32 v23, v69, v24
	v_mul_f16_e32 v69, 0xbbf7, v103
	v_add_f16_e64 v217, v218, v217
	v_fmamk_f16 v24, v80, 0x3722, v70
	v_add_f16_e32 v17, v18, v17
	v_add_f16_e32 v18, v65, v23
	v_mul_f16_e32 v65, 0xbbb2, v105
	v_fmac_f16_e64 v139, 0xb836, v79
	v_add_f16_e64 v23, v24, v217
	v_fmamk_f16 v24, v83, 0x2de8, v69
	v_add_f16_e32 v17, v19, v17
	v_add_f16_e32 v18, v71, v18
	v_fmac_f16_e32 v126, 0x3b29, v81
	v_fmac_f16_e32 v121, 0xbbf7, v82
	v_add_f16_e32 v23, v24, v23
	v_fmamk_f16 v24, v85, 0xb461, v65
	v_add_f16_e32 v17, v20, v17
	v_add_f16_e32 v18, v72, v18
	v_mul_f16_e32 v20, 0xba62, v107
	v_fmac_f16_e32 v118, 0x3a62, v84
	v_add_f16_e32 v23, v24, v23
	v_add_f16_e32 v17, v21, v17
	;; [unrolled: 1-line block ×3, first 2 shown]
	v_fmamk_f16 v21, v87, 0xb8d2, v20
	v_mul_f16_e32 v24, 0xb836, v111
	v_fmac_f16_e32 v117, 0xb5c8, v86
	v_add_f16_e32 v17, v22, v17
	v_add_f16_e32 v18, v68, v18
	;; [unrolled: 1-line block ×3, first 2 shown]
	v_fmamk_f16 v22, v89, 0xbacd, v24
	v_mul_f16_e32 v23, 0xb1e1, v127
	v_add_f16_e32 v15, v15, v17
	v_add_f16_e32 v17, v66, v18
	v_fmac_f16_e32 v116, 0xb1e1, v88
	v_add_f16_e32 v18, v22, v21
	v_fmamk_f16 v21, v91, 0xbbdd, v23
	v_add_f16_e32 v15, v16, v15
	v_add_f16_e32 v16, v63, v17
	v_add_f16_e64 v17, v64, v139
	v_fmac_f16_e32 v112, 0x3964, v90
	v_add_f16_e32 v18, v21, v18
	v_fma_f16 v21, v77, 0xbacd, -v142
	v_add_f16_e32 v13, v13, v15
	v_add_f16_e32 v15, v38, v16
	v_add_f16_e32 v16, v126, v17
	v_fmac_f16_e32 v119, 0xba62, v79
	v_add_f16_e32 v17, v62, v21
	v_fma_f16 v21, v78, 0x3722, -v140
	v_add_f16_e32 v13, v14, v13
	v_add_f16_e32 v14, v37, v15
	v_add_f16_e32 v15, v121, v16
	;; [unrolled: 6-line block ×3, first 2 shown]
	v_fmac_f16_e64 v168, 0xbbb2, v79
	v_add_f16_e32 v15, v17, v16
	v_fma_f16 v16, v83, 0xb8d2, -v137
	v_add_f16_e32 v11, v12, v11
	v_add_f16_e32 v12, v34, v13
	;; [unrolled: 1-line block ×3, first 2 shown]
	v_fmac_f16_e64 v169, 0x3836, v81
	v_add_f16_e32 v14, v16, v15
	v_fma_f16 v15, v85, 0x3b76, -v129
	v_add_f16_e32 v9, v9, v11
	v_add_f16_e32 v11, v33, v12
	;; [unrolled: 1-line block ×3, first 2 shown]
	v_fma_f16 v16, v78, 0xb461, -v156
	v_add_f16_e32 v13, v15, v14
	v_fma_f16 v14, v87, 0xbbdd, -v130
	v_add_f16_e32 v9, v10, v9
	v_add_f16_e32 v10, v32, v11
	;; [unrolled: 1-line block ×5, first 2 shown]
	v_fma_f16 v13, v89, 0x39e9, -v135
	v_fma_f16 v14, v77, 0xb8d2, -v155
	v_fmac_f16_e64 v170, 0x3964, v82
	v_fmac_f16_e64 v171, 0xbb29, v84
	;; [unrolled: 1-line block ×3, first 2 shown]
	v_add_f16_e32 v12, v13, v12
	v_fma_f16 v13, v91, 0xb461, -v131
	v_add_f16_e32 v14, v62, v14
	v_fmac_f16_e64 v180, 0x3bf7, v88
	v_fmac_f16_e64 v160, 0xb5c8, v90
	v_fma_f16 v17, v77, 0xb461, -v162
	v_add_f16_e32 v12, v13, v12
	v_add_f16_e32 v13, v113, v15
	;; [unrolled: 1-line block ×3, first 2 shown]
	v_fma_f16 v15, v80, 0x3b76, -v143
	v_add_f16_e64 v16, v64, v168
	v_fmac_f16_e64 v182, 0xbbf7, v79
	v_fmac_f16_e64 v163, 0xb1e1, v81
	v_fma_f16 v22, v77, 0x2de8, -v186
	v_add_f16_e32 v14, v15, v14
	v_fma_f16 v15, v83, 0xbacd, -v144
	v_add_f16_e64 v16, v169, v16
	v_add_f16_e64 v21, v64, v182
	v_fmac_f16_e64 v164, 0x3bb2, v82
	v_add_f16_e32 v10, v31, v10
	v_add_f16_e32 v14, v15, v14
	v_fma_f16 v15, v85, 0x2de8, -v145
	v_add_f16_e64 v16, v170, v16
	v_add_f16_e64 v21, v163, v21
	v_add_f16_e32 v22, v62, v22
	v_fma_f16 v31, v78, 0xbbdd, -v187
	v_add_f16_e32 v14, v15, v14
	v_fma_f16 v15, v87, 0x39e9, -v152
	v_add_f16_e64 v16, v171, v16
	v_add_f16_e64 v21, v164, v21
	v_fmac_f16_e64 v165, 0x35c8, v84
	v_add_f16_e32 v22, v31, v22
	v_add_f16_e32 v14, v15, v14
	v_fma_f16 v15, v89, 0xbbdd, -v153
	v_add_f16_e64 v16, v179, v16
	v_fma_f16 v31, v80, 0xb461, -v188
	v_add_f16_e64 v21, v165, v21
	v_fmac_f16_e64 v177, 0xbb29, v86
	v_add_f16_e32 v14, v15, v14
	v_fma_f16 v15, v91, 0x3722, -v154
	v_add_f16_e64 v16, v180, v16
	v_add_f16_e32 v22, v31, v22
	v_fma_f16 v31, v83, 0x3b76, -v192
	v_add_f16_e64 v21, v177, v21
	v_add_f16_e32 v14, v15, v14
	v_add_f16_e64 v15, v160, v16
	v_add_f16_e32 v16, v62, v17
	v_fma_f16 v17, v78, 0xbacd, -v150
	v_fmac_f16_e64 v178, 0xb836, v88
	v_add_f16_e32 v22, v31, v22
	v_fma_f16 v31, v85, 0x3722, -v193
	v_fmac_f16_e64 v181, 0x3a62, v90
	v_add_f16_e32 v16, v17, v16
	v_fma_f16 v17, v80, 0x39e9, -v128
	v_add_f16_e64 v21, v178, v21
	v_add_f16_e32 v22, v31, v22
	v_fma_f16 v31, v87, 0xbacd, -v200
	v_fmac_f16_e64 v176, 0x3964, v92
	v_add_f16_e32 v16, v17, v16
	v_fma_f16 v17, v83, 0x3722, -v132
	v_add_f16_e64 v21, v181, v21
	v_add_f16_e32 v22, v31, v22
	v_fma_f16 v31, v89, 0xb8d2, -v202
	v_fmac_f16_e64 v172, 0xbb29, v79
	v_add_f16_e32 v16, v17, v16
	v_fma_f16 v17, v85, 0xbbdd, -v136
	v_fmac_f16_e64 v157, 0xba62, v81
	v_add_f16_e32 v22, v31, v22
	v_fma_f16 v31, v91, 0x39e9, -v183
	v_add_f16_e64 v32, v64, v172
	v_add_f16_e32 v16, v17, v16
	v_fma_f16 v17, v87, 0x2de8, -v146
	v_fma_f16 v33, v78, 0xb8d2, -v201
	v_fmac_f16_e64 v209, 0xb964, v79
	v_add_f16_e32 v22, v31, v22
	v_add_f16_e64 v31, v157, v32
	v_add_f16_e32 v16, v17, v16
	v_fma_f16 v17, v89, 0x3b76, -v147
	v_fma_f16 v32, v80, 0xbbdd, -v189
	v_fmac_f16_e64 v210, 0xbbf7, v81
	v_fmac_f16_e64 v211, 0xba62, v82
	;; [unrolled: 1-line block ×3, first 2 shown]
	v_add_f16_e32 v16, v17, v16
	v_fma_f16 v17, v91, 0xb8d2, -v149
	v_fmac_f16_e64 v213, 0x3836, v86
	v_fmac_f16_e64 v214, 0x3bb2, v88
	;; [unrolled: 1-line block ×3, first 2 shown]
	v_fma_f16 v34, v77, 0x39e9, -v208
	v_add_f16_e32 v16, v17, v16
	v_add_f16_e64 v17, v176, v21
	v_fma_f16 v21, v77, 0x3722, -v199
	v_fmac_f16_e64 v215, 0xb5c8, v79
	v_fma_f16 v37, v77, 0x3b76, -v221
	v_fmac_f16_e64 v203, 0xb964, v81
	v_fma_f16 v38, v78, 0x39e9, -v102
	v_add_f16_e32 v21, v62, v21
	v_add_f16_e64 v35, v64, v215
	v_add_f16_e32 v37, v62, v37
	v_fmac_f16_e32 v114, 0xb5c8, v82
	v_fmac_f16_e64 v205, 0xbb29, v82
	v_add_f16_e32 v21, v33, v21
	v_add_f16_e64 v33, v64, v209
	v_add_f16_e64 v35, v203, v35
	v_fmac_f16_e64 v158, 0x31e1, v82
	v_add_f16_e32 v37, v38, v37
	v_add_f16_e32 v21, v32, v21
	v_fma_f16 v32, v83, 0xb461, -v190
	v_add_f16_e64 v33, v210, v33
	v_fma_f16 v38, v80, 0x3722, -v70
	v_add_f16_e32 v13, v114, v13
	v_fmac_f16_e32 v115, 0xb836, v84
	v_add_f16_e32 v21, v32, v21
	v_fma_f16 v32, v85, 0x39e9, -v191
	v_add_f16_e64 v33, v211, v33
	v_add_f16_e64 v35, v205, v35
	v_fmac_f16_e64 v206, 0xbbf7, v84
	v_add_f16_e64 v31, v158, v31
	v_add_f16_e32 v21, v32, v21
	v_fma_f16 v32, v87, 0x3b76, -v196
	v_add_f16_e64 v33, v212, v33
	v_fmac_f16_e64 v159, 0x3bb2, v84
	v_add_f16_e32 v37, v38, v37
	v_fma_f16 v38, v83, 0x2de8, -v69
	v_add_f16_e32 v21, v32, v21
	v_fma_f16 v32, v89, 0x2de8, -v197
	v_add_f16_e64 v33, v213, v33
	v_mul_f16_e64 v151, 0xbacd, v151
	v_add_f16_e32 v13, v115, v13
	v_fmac_f16_e32 v122, 0x3bf7, v86
	v_add_f16_e32 v21, v32, v21
	v_fma_f16 v32, v91, 0xbacd, -v198
	v_add_f16_e64 v33, v214, v33
	v_add_f16_e64 v35, v206, v35
	v_fmac_f16_e64 v207, 0xbbb2, v86
	v_add_f16_e64 v31, v159, v31
	v_add_f16_e32 v21, v32, v21
	v_add_f16_e64 v32, v204, v33
	v_add_f16_e32 v33, v62, v34
	v_fma_f16 v34, v78, 0x2de8, -v195
	v_fmac_f16_e64 v173, 0x3964, v86
	v_add_f16_e32 v37, v38, v37
	v_fma_f16 v38, v85, 0xb461, -v65
	v_fma_f16 v100, 0x3836, v90, v151
	v_add_f16_e32 v33, v34, v33
	v_fma_f16 v34, v80, 0xb8d2, -v184
	v_mul_f16_e64 v19, 0xbbdd, v141
	v_add_f16_e32 v13, v122, v13
	v_fmac_f16_e32 v123, 0xb964, v88
	v_add_f16_e64 v35, v207, v35
	v_add_f16_e32 v33, v34, v33
	v_fma_f16 v34, v83, 0xbbdd, -v185
	v_fmac_f16_e64 v167, 0xba62, v88
	v_add_f16_e64 v31, v173, v31
	v_fmac_f16_e64 v174, 0xb5c8, v88
	v_add_f16_e32 v37, v38, v37
	v_add_f16_e32 v33, v34, v33
	v_fma_f16 v34, v85, 0xbacd, -v194
	v_fma_f16 v20, v87, 0xb8d2, -v20
	v_add_f16_e64 v100, v100, v216
	v_fmamk_f16 v71, v92, 0x31e1, v19
	v_add_f16_e32 v13, v123, v13
	v_add_f16_e32 v33, v34, v33
	v_fma_f16 v34, v87, 0xb461, -v108
	v_fmac_f16_e32 v124, 0xb1e1, v90
	v_add_f16_e64 v35, v167, v35
	v_fmac_f16_e64 v151, 0xb836, v90
	v_add_f16_e64 v31, v174, v31
	v_add_f16_e32 v33, v34, v33
	v_fma_f16 v34, v89, 0x3722, -v120
	v_fmac_f16_e64 v175, 0xbbf7, v90
	v_add_f16_e32 v20, v20, v37
	v_fma_f16 v24, v89, 0xbacd, -v24
	v_add_f16_e32 v67, v71, v100
	v_and_b32_e32 v30, 0xffff, v30
	v_fmac_f16_e32 v110, 0xbbb2, v92
	v_add_f16_e32 v13, v124, v13
	v_fmac_f16_e32 v125, 0x3b29, v92
	v_fmac_f16_e64 v161, 0xba62, v92
	v_add_f16_e32 v33, v34, v33
	v_fma_f16 v34, v91, 0x3b76, -v134
	v_add_f16_e64 v35, v151, v35
	v_fmac_f16_e32 v19, 0xb1e1, v92
	v_add_f16_e64 v31, v175, v31
	v_fmac_f16_e64 v166, 0xb836, v92
	v_fmac_f16_e32 v106, 0x35c8, v92
	v_add_f16_e32 v20, v24, v20
	v_fma_f16 v23, v91, 0xbbdd, -v23
	v_lshl_add_u32 v24, v30, 2, v29
	v_pack_b32_f16 v18, v18, v67
	v_pack_b32_f16 v9, v9, v10
	v_add_f16_e32 v11, v110, v11
	v_add_f16_e32 v13, v125, v13
	v_pack_b32_f16 v10, v133, v109
	v_pack_b32_f16 v30, v148, v101
	v_add_f16_e64 v15, v161, v15
	v_add_f16_e32 v33, v34, v33
	v_add_f16_e32 v19, v19, v35
	v_pack_b32_f16 v34, v98, v97
	v_pack_b32_f16 v35, v104, v99
	v_add_f16_e64 v31, v166, v31
	v_add_f16_e32 v32, v106, v32
	v_pack_b32_f16 v37, v94, v93
	v_pack_b32_f16 v38, v96, v95
	v_add_f16_e32 v20, v23, v20
	ds_store_2addr_b32 v24, v9, v18 offset1:1
	ds_store_2addr_b32 v24, v30, v10 offset0:2 offset1:3
	ds_store_2addr_b32 v24, v35, v34 offset0:4 offset1:5
	;; [unrolled: 1-line block ×3, first 2 shown]
	v_perm_b32 v9, v76, v75, 0x5040100
	v_perm_b32 v10, v74, v73, 0x5040100
	v_pack_b32_f16 v13, v14, v13
	v_pack_b32_f16 v11, v12, v11
	;; [unrolled: 1-line block ×7, first 2 shown]
	ds_store_2addr_b32 v24, v10, v9 offset0:8 offset1:9
	ds_store_2addr_b32 v24, v11, v13 offset0:10 offset1:11
	;; [unrolled: 1-line block ×4, first 2 shown]
	ds_store_b32 v24, v17 offset:64
.LBB0_17:
	s_wait_alu 0xfffe
	s_or_b32 exec_lo, exec_lo, s1
	global_wb scope:SCOPE_SE
	s_wait_dscnt 0x0
	s_barrier_signal -1
	s_barrier_wait -1
	global_inv scope:SCOPE_SE
	ds_load_2addr_b32 v[11:12], v36 offset1:34
	ds_load_2addr_b32 v[15:16], v36 offset0:153 offset1:187
	ds_load_2addr_b32 v[9:10], v36 offset0:68 offset1:102
	;; [unrolled: 1-line block ×3, first 2 shown]
	s_and_saveexec_b32 s1, s0
	s_cbranch_execz .LBB0_19
; %bb.18:
	ds_load_b32 v73, v36 offset:544
	ds_load_b32 v75, v36 offset:1156
	s_wait_dscnt 0x1
	v_lshrrev_b32_e32 v74, 16, v73
	s_wait_dscnt 0x0
	v_lshrrev_b32_e32 v76, 16, v75
.LBB0_19:
	s_wait_alu 0xfffe
	s_or_b32 exec_lo, exec_lo, s1
	s_wait_dscnt 0x2
	v_lshrrev_b32_e32 v17, 16, v15
	v_lshrrev_b32_e32 v20, 16, v16
	s_wait_dscnt 0x0
	v_lshrrev_b32_e32 v23, 16, v13
	v_mul_f16_e32 v31, v52, v15
	v_lshrrev_b32_e32 v30, 16, v14
	v_mul_f16_e32 v22, v52, v17
	v_mul_f16_e32 v32, v54, v16
	;; [unrolled: 1-line block ×3, first 2 shown]
	v_fma_f16 v17, v43, v17, -v31
	v_mul_f16_e32 v31, v53, v13
	v_fmac_f16_e32 v22, v43, v15
	v_mul_f16_e32 v15, v54, v20
	v_fmac_f16_e32 v33, v44, v13
	v_mul_f16_e32 v13, v51, v30
	v_lshrrev_b32_e32 v18, 16, v11
	v_lshrrev_b32_e32 v19, 16, v12
	v_fmac_f16_e32 v15, v45, v16
	v_fma_f16 v16, v45, v20, -v32
	v_fma_f16 v20, v44, v23, -v31
	v_mul_f16_e32 v23, v51, v14
	v_lshrrev_b32_e32 v21, 16, v9
	v_lshrrev_b32_e32 v24, 16, v10
	v_fmac_f16_e32 v13, v42, v14
	v_sub_f16_e32 v14, v12, v15
	v_fma_f16 v15, v42, v30, -v23
	v_sub_f16_e32 v22, v11, v22
	v_sub_f16_e32 v17, v18, v17
	;; [unrolled: 1-line block ×7, first 2 shown]
	v_fma_f16 v11, v11, 2.0, -v22
	v_fma_f16 v18, v18, 2.0, -v17
	v_fma_f16 v12, v12, 2.0, -v14
	v_fma_f16 v19, v19, 2.0, -v16
	v_fma_f16 v9, v9, 2.0, -v23
	v_fma_f16 v21, v21, 2.0, -v20
	v_fma_f16 v10, v10, 2.0, -v13
	v_fma_f16 v24, v24, 2.0, -v15
	v_pack_b32_f16 v11, v11, v18
	v_pack_b32_f16 v17, v22, v17
	;; [unrolled: 1-line block ×8, first 2 shown]
	global_wb scope:SCOPE_SE
	s_barrier_signal -1
	s_barrier_wait -1
	global_inv scope:SCOPE_SE
	ds_store_2addr_b32 v46, v11, v17 offset1:17
	ds_store_2addr_b32 v48, v12, v14 offset1:17
	;; [unrolled: 1-line block ×4, first 2 shown]
	s_and_saveexec_b32 s1, s0
	s_cbranch_execz .LBB0_21
; %bb.20:
	v_mul_f16_e32 v9, v47, v76
	v_mul_f16_e32 v10, v47, v75
	v_lshl_add_u32 v13, v39, 2, v29
	s_delay_alu instid0(VALU_DEP_3) | instskip(NEXT) | instid1(VALU_DEP_3)
	v_fmac_f16_e32 v9, v40, v75
	v_fma_f16 v10, v40, v76, -v10
	s_delay_alu instid0(VALU_DEP_2) | instskip(NEXT) | instid1(VALU_DEP_2)
	v_sub_f16_e32 v9, v73, v9
	v_sub_f16_e32 v10, v74, v10
	s_delay_alu instid0(VALU_DEP_2) | instskip(NEXT) | instid1(VALU_DEP_2)
	v_fma_f16 v11, v73, 2.0, -v9
	v_fma_f16 v12, v74, 2.0, -v10
	v_pack_b32_f16 v9, v9, v10
	s_delay_alu instid0(VALU_DEP_2)
	v_pack_b32_f16 v10, v11, v12
	v_add_nc_u32_e32 v11, 0x400, v13
	ds_store_2addr_b32 v11, v10, v9 offset0:16 offset1:33
.LBB0_21:
	s_wait_alu 0xfffe
	s_or_b32 exec_lo, exec_lo, s1
	global_wb scope:SCOPE_SE
	s_wait_dscnt 0x0
	s_barrier_signal -1
	s_barrier_wait -1
	global_inv scope:SCOPE_SE
	ds_load_2addr_b32 v[9:10], v36 offset1:34
	ds_load_2addr_b32 v[11:12], v36 offset0:68 offset1:102
	ds_load_2addr_b32 v[13:14], v36 offset0:136 offset1:170
	;; [unrolled: 1-line block ×3, first 2 shown]
	ds_load_b32 v17, v36 offset:1088
	s_wait_dscnt 0x4
	v_lshrrev_b32_e32 v19, 16, v10
	s_wait_dscnt 0x3
	v_lshrrev_b32_e32 v20, 16, v11
	v_lshrrev_b32_e32 v21, 16, v12
	v_mul_f16_e32 v30, v61, v10
	v_mul_f16_e32 v32, v60, v11
	s_wait_dscnt 0x2
	v_lshrrev_b32_e32 v22, 16, v13
	v_lshrrev_b32_e32 v23, 16, v14
	v_mul_f16_e32 v33, v59, v12
	v_mul_f16_e32 v34, v61, v19
	v_fma_f16 v19, v0, v19, -v30
	v_mul_f16_e32 v30, v60, v20
	v_fma_f16 v20, v1, v20, -v32
	v_mul_f16_e32 v32, v59, v21
	s_wait_dscnt 0x1
	v_lshrrev_b32_e32 v29, 16, v16
	s_wait_dscnt 0x0
	v_lshrrev_b32_e32 v31, 16, v17
	v_fma_f16 v21, v2, v21, -v33
	v_mul_f16_e32 v33, v58, v22
	v_fmac_f16_e32 v34, v0, v10
	v_fmac_f16_e32 v30, v1, v11
	;; [unrolled: 1-line block ×3, first 2 shown]
	v_mul_f16_e32 v0, v58, v13
	v_mul_f16_e32 v1, v57, v23
	;; [unrolled: 1-line block ×3, first 2 shown]
	v_lshrrev_b32_e32 v24, 16, v15
	v_fmac_f16_e32 v33, v3, v13
	v_fma_f16 v0, v3, v22, -v0
	v_fmac_f16_e32 v1, v4, v14
	v_fma_f16 v2, v4, v23, -v2
	v_mul_f16_e32 v3, v56, v31
	v_mul_f16_e32 v4, v56, v17
	;; [unrolled: 1-line block ×6, first 2 shown]
	v_fmac_f16_e32 v3, v7, v17
	v_fma_f16 v4, v7, v31, -v4
	v_fmac_f16_e32 v11, v6, v16
	v_fma_f16 v6, v6, v29, -v13
	;; [unrolled: 2-line block ×3, first 2 shown]
	v_add_f16_e32 v7, v34, v3
	v_add_f16_e32 v12, v19, v4
	;; [unrolled: 1-line block ×4, first 2 shown]
	v_sub_f16_e32 v3, v34, v3
	v_add_f16_e32 v15, v32, v10
	v_sub_f16_e32 v4, v19, v4
	v_add_f16_e32 v17, v21, v5
	v_add_f16_e32 v35, v13, v7
	;; [unrolled: 1-line block ×3, first 2 shown]
	v_sub_f16_e32 v11, v30, v11
	v_mul_f16_e32 v16, 0x3924, v3
	v_sub_f16_e32 v6, v20, v6
	v_mul_f16_e32 v19, 0x3924, v4
	v_sub_f16_e32 v22, v33, v1
	v_sub_f16_e32 v23, v0, v2
	v_add_f16_e32 v39, v15, v35
	v_add_f16_e32 v40, v17, v36
	v_sub_f16_e32 v10, v32, v10
	v_fmac_f16_e32 v16, 0x3be1, v11
	v_sub_f16_e32 v5, v21, v5
	v_fmac_f16_e32 v19, 0x3be1, v6
	v_add_f16_e32 v24, v33, v1
	v_add_f16_e32 v29, v0, v2
	v_mul_f16_e32 v30, 0xb924, v23
	v_mul_f16_e32 v32, 0xb924, v22
	v_add_f16_e32 v33, v33, v39
	v_add_f16_e32 v0, v0, v40
	v_lshrrev_b32_e32 v18, 16, v9
	v_fmac_f16_e32 v16, 0x3aee, v10
	v_fmac_f16_e32 v19, 0x3aee, v5
	v_fmamk_f16 v31, v24, 0x3a21, v9
	v_fmac_f16_e32 v30, 0x3be1, v4
	v_fmac_f16_e32 v32, 0x3be1, v3
	v_add_f16_e32 v1, v1, v33
	v_add_f16_e32 v0, v2, v0
	v_fmamk_f16 v20, v7, 0x3a21, v9
	v_fmamk_f16 v21, v12, 0x3a21, v18
	v_fmac_f16_e32 v16, 0x3579, v22
	v_fmac_f16_e32 v19, 0x3579, v23
	v_fmamk_f16 v34, v29, 0x3a21, v18
	v_fmac_f16_e32 v31, 0x318f, v7
	v_fmac_f16_e32 v30, 0xbaee, v5
	;; [unrolled: 1-line block ×3, first 2 shown]
	v_add_f16_e32 v37, v22, v3
	v_add_f16_e32 v38, v23, v4
	;; [unrolled: 1-line block ×4, first 2 shown]
	v_mul_f16_e32 v22, 0x3be1, v22
	v_mul_f16_e32 v23, 0x3be1, v23
	v_add_f16_e32 v1, v1, v9
	v_add_f16_e32 v0, v0, v18
	v_fmac_f16_e32 v9, 0x3a21, v13
	v_fmac_f16_e32 v18, 0x3a21, v14
	v_fmac_f16_e32 v31, -0.5, v15
	v_fmac_f16_e32 v30, 0x3579, v6
	v_fmac_f16_e32 v32, 0x3579, v11
	v_sub_f16_e32 v37, v37, v11
	v_sub_f16_e32 v38, v38, v6
	v_fma_f16 v11, v11, 0xb924, -v22
	v_fma_f16 v6, v6, 0xb924, -v23
	v_fmac_f16_e32 v9, 0x318f, v24
	v_fmac_f16_e32 v18, 0x318f, v29
	;; [unrolled: 1-line block ×6, first 2 shown]
	v_add_f16_e32 v2, v24, v35
	v_add_f16_e32 v13, v29, v36
	v_fmac_f16_e32 v11, 0x3aee, v10
	v_fmac_f16_e32 v6, 0x3aee, v5
	v_fmac_f16_e32 v9, -0.5, v15
	v_fmac_f16_e32 v18, -0.5, v17
	;; [unrolled: 1-line block ×7, first 2 shown]
	v_fmac_f16_e32 v11, 0x3579, v3
	v_fmac_f16_e32 v6, 0x3579, v4
	;; [unrolled: 1-line block ×7, first 2 shown]
	v_mul_f16_e32 v39, 0x3aee, v37
	v_mul_f16_e32 v2, 0x3aee, v38
	v_fmac_f16_e32 v40, 0xbaee, v38
	v_fmac_f16_e32 v41, 0x3aee, v37
	v_sub_f16_e32 v3, v9, v6
	v_add_f16_e32 v4, v11, v18
	v_sub_f16_e32 v20, v20, v19
	v_add_f16_e32 v21, v16, v21
	;; [unrolled: 2-line block ×3, first 2 shown]
	v_fma_f16 v2, 2.0, v2, v40
	v_fma_f16 v7, -2.0, v39, v41
	v_fma_f16 v6, 2.0, v6, v3
	v_fma_f16 v9, -2.0, v11, v4
	;; [unrolled: 2-line block ×4, first 2 shown]
	v_pack_b32_f16 v0, v1, v0
	v_pack_b32_f16 v1, v20, v21
	;; [unrolled: 1-line block ×9, first 2 shown]
	v_add_nc_u32_e32 v7, 0x200, v25
	ds_store_b32 v25, v0
	ds_store_2addr_b32 v25, v1, v10 offset0:34 offset1:68
	ds_store_2addr_b32 v25, v11, v3 offset0:102 offset1:136
	;; [unrolled: 1-line block ×4, first 2 shown]
	global_wb scope:SCOPE_SE
	s_wait_dscnt 0x0
	s_barrier_signal -1
	s_barrier_wait -1
	global_inv scope:SCOPE_SE
	s_and_b32 exec_lo, exec_lo, vcc_lo
	s_cbranch_execz .LBB0_23
; %bb.22:
	global_load_b32 v0, v27, s[12:13]
	ds_load_b32 v1, v25
	s_mov_b32 s8, 0x1ac5701b
	s_mov_b32 s9, 0x3f6ac570
	v_mad_co_u64_u32 v[6:7], null, s4, v28, 0
	s_wait_dscnt 0x0
	v_lshrrev_b32_e32 v2, 16, v1
	s_wait_loadcnt 0x0
	v_lshrrev_b32_e32 v3, 16, v0
	s_delay_alu instid0(VALU_DEP_1) | instskip(SKIP_1) | instid1(VALU_DEP_2)
	v_mul_f16_e32 v4, v2, v3
	v_mul_f16_e32 v3, v1, v3
	v_fmac_f16_e32 v4, v1, v0
	s_delay_alu instid0(VALU_DEP_2) | instskip(NEXT) | instid1(VALU_DEP_2)
	v_fma_f16 v0, v0, v2, -v3
	v_cvt_f32_f16_e32 v1, v4
	s_delay_alu instid0(VALU_DEP_2) | instskip(SKIP_1) | instid1(VALU_DEP_3)
	v_cvt_f32_f16_e32 v2, v0
	v_mad_co_u64_u32 v[4:5], null, s6, v8, 0
	v_cvt_f64_f32_e32 v[0:1], v1
	s_delay_alu instid0(VALU_DEP_3) | instskip(SKIP_1) | instid1(VALU_DEP_2)
	v_cvt_f64_f32_e32 v[2:3], v2
	s_wait_alu 0xfffe
	v_mul_f64_e32 v[0:1], s[8:9], v[0:1]
	s_delay_alu instid0(VALU_DEP_2) | instskip(NEXT) | instid1(VALU_DEP_2)
	v_mul_f64_e32 v[2:3], s[8:9], v[2:3]
	v_and_or_b32 v0, 0x1ff, v1, v0
	s_delay_alu instid0(VALU_DEP_2)
	v_and_or_b32 v2, 0x1ff, v3, v2
	v_lshrrev_b32_e32 v9, 8, v1
	v_bfe_u32 v10, v1, 20, 11
	v_bfe_u32 v12, v3, 20, 11
	v_cmp_ne_u32_e32 vcc_lo, 0, v0
	v_lshrrev_b32_e32 v11, 8, v3
	v_mov_b32_e32 v0, v7
	v_sub_nc_u32_e32 v14, 0x3f1, v10
	v_sub_nc_u32_e32 v15, 0x3f1, v12
	v_cndmask_b32_e64 v13, 0, 1, vcc_lo
	v_cmp_ne_u32_e32 vcc_lo, 0, v2
	v_mad_co_u64_u32 v[7:8], null, s7, v8, v[5:6]
	v_add_nc_u32_e32 v10, 0xfffffc10, v10
	s_delay_alu instid0(VALU_DEP_4)
	v_and_or_b32 v13, 0xffe, v9, v13
	s_wait_alu 0xfffd
	v_cndmask_b32_e64 v2, 0, 1, vcc_lo
	v_add_nc_u32_e32 v12, 0xfffffc10, v12
	v_lshrrev_b32_e32 v3, 16, v3
	s_mul_u64 s[6:7], s[4:5], 0x48
	v_mov_b32_e32 v5, v7
	v_and_or_b32 v2, 0xffe, v11, v2
	v_med3_i32 v11, v14, 0, 13
	v_med3_i32 v14, v15, 0, 13
	v_or_b32_e32 v15, 0x1000, v13
	v_mad_co_u64_u32 v[8:9], null, s5, v28, v[0:1]
	v_or_b32_e32 v16, 0x1000, v2
	v_lshrrev_b32_e32 v1, 16, v1
	s_delay_alu instid0(VALU_DEP_4) | instskip(SKIP_1) | instid1(VALU_DEP_4)
	v_lshrrev_b32_e32 v0, v11, v15
	v_lshlrev_b64_e32 v[4:5], 2, v[4:5]
	v_lshrrev_b32_e32 v9, v14, v16
	v_mov_b32_e32 v7, v8
	s_delay_alu instid0(VALU_DEP_4) | instskip(NEXT) | instid1(VALU_DEP_3)
	v_lshlrev_b32_e32 v11, v11, v0
	v_lshlrev_b32_e32 v8, v14, v9
	v_lshl_or_b32 v14, v10, 12, v13
	s_delay_alu instid0(VALU_DEP_3) | instskip(SKIP_4) | instid1(VALU_DEP_2)
	v_cmp_ne_u32_e32 vcc_lo, v11, v15
	v_lshlrev_b64_e32 v[6:7], 2, v[6:7]
	s_wait_alu 0xfffd
	v_cndmask_b32_e64 v11, 0, 1, vcc_lo
	v_cmp_ne_u32_e32 vcc_lo, v8, v16
	v_or_b32_e32 v0, v0, v11
	s_wait_alu 0xfffd
	v_cndmask_b32_e64 v8, 0, 1, vcc_lo
	v_cmp_gt_i32_e32 vcc_lo, 1, v10
	v_lshl_or_b32 v11, v12, 12, v2
	s_delay_alu instid0(VALU_DEP_3)
	v_or_b32_e32 v8, v9, v8
	s_wait_alu 0xfffd
	v_cndmask_b32_e32 v0, v14, v0, vcc_lo
	v_cmp_gt_i32_e32 vcc_lo, 1, v12
	s_wait_alu 0xfffd
	v_cndmask_b32_e32 v8, v11, v8, vcc_lo
	v_cmp_ne_u32_e32 vcc_lo, 0, v13
	s_delay_alu instid0(VALU_DEP_2)
	v_and_b32_e32 v13, 7, v8
	s_wait_alu 0xfffd
	v_cndmask_b32_e64 v9, 0, 1, vcc_lo
	v_cmp_ne_u32_e32 vcc_lo, 0, v2
	v_lshrrev_b32_e32 v8, 2, v8
	v_cmp_lt_i32_e64 s1, 5, v13
	v_cmp_eq_u32_e64 s2, 3, v13
	s_wait_alu 0xfffd
	v_cndmask_b32_e64 v2, 0, 1, vcc_lo
	v_lshl_or_b32 v9, v9, 9, 0x7c00
	s_delay_alu instid0(VALU_DEP_2) | instskip(SKIP_2) | instid1(VALU_DEP_2)
	v_lshl_or_b32 v2, v2, 9, 0x7c00
	v_and_b32_e32 v11, 7, v0
	v_lshrrev_b32_e32 v0, 2, v0
	v_cmp_lt_i32_e32 vcc_lo, 5, v11
	v_cmp_eq_u32_e64 s0, 3, v11
	s_delay_alu instid0(VALU_DEP_1)
	s_or_b32 vcc_lo, s0, vcc_lo
	s_wait_alu 0xfffe
	v_add_co_ci_u32_e32 v0, vcc_lo, 0, v0, vcc_lo
	s_or_b32 vcc_lo, s2, s1
	s_wait_alu 0xfffe
	v_add_co_ci_u32_e32 v8, vcc_lo, 0, v8, vcc_lo
	v_cmp_gt_i32_e32 vcc_lo, 31, v10
	s_wait_alu 0xfffd
	v_cndmask_b32_e32 v0, 0x7c00, v0, vcc_lo
	v_cmp_gt_i32_e32 vcc_lo, 31, v12
	s_wait_alu 0xfffd
	v_cndmask_b32_e32 v8, 0x7c00, v8, vcc_lo
	v_cmp_eq_u32_e32 vcc_lo, 0x40f, v10
	s_wait_alu 0xfffd
	v_cndmask_b32_e32 v0, v0, v9, vcc_lo
	v_cmp_eq_u32_e32 vcc_lo, 0x40f, v12
	s_wait_alu 0xfffd
	v_cndmask_b32_e32 v2, v8, v2, vcc_lo
	s_delay_alu instid0(VALU_DEP_3)
	v_and_or_b32 v8, 0x8000, v1, v0
	v_add_co_u32 v0, vcc_lo, s14, v4
	s_wait_alu 0xfffd
	v_add_co_ci_u32_e32 v1, vcc_lo, s15, v5, vcc_lo
	v_and_or_b32 v4, 0x8000, v3, v2
	v_and_b32_e32 v5, 0xffff, v8
	v_add_co_u32 v2, vcc_lo, v0, v6
	s_wait_alu 0xfffd
	v_add_co_ci_u32_e32 v3, vcc_lo, v1, v7, vcc_lo
	s_delay_alu instid0(VALU_DEP_3)
	v_lshl_or_b32 v4, v4, 16, v5
	global_store_b32 v[2:3], v4, off
	global_load_b32 v6, v27, s[12:13] offset:72
	ds_load_2addr_b32 v[4:5], v25 offset0:18 offset1:36
	s_wait_dscnt 0x0
	v_lshrrev_b32_e32 v7, 16, v4
	s_wait_loadcnt 0x0
	v_lshrrev_b32_e32 v8, 16, v6
	s_delay_alu instid0(VALU_DEP_1) | instskip(SKIP_1) | instid1(VALU_DEP_2)
	v_mul_f16_e32 v9, v7, v8
	v_mul_f16_e32 v8, v4, v8
	v_fmac_f16_e32 v9, v4, v6
	s_delay_alu instid0(VALU_DEP_2) | instskip(NEXT) | instid1(VALU_DEP_2)
	v_fma_f16 v4, v6, v7, -v8
	v_cvt_f32_f16_e32 v6, v9
	s_delay_alu instid0(VALU_DEP_2) | instskip(NEXT) | instid1(VALU_DEP_2)
	v_cvt_f32_f16_e32 v4, v4
	v_cvt_f64_f32_e32 v[6:7], v6
	s_delay_alu instid0(VALU_DEP_2) | instskip(NEXT) | instid1(VALU_DEP_2)
	v_cvt_f64_f32_e32 v[8:9], v4
	v_mul_f64_e32 v[6:7], s[8:9], v[6:7]
	s_delay_alu instid0(VALU_DEP_2) | instskip(NEXT) | instid1(VALU_DEP_2)
	v_mul_f64_e32 v[8:9], s[8:9], v[8:9]
	v_and_or_b32 v4, 0x1ff, v7, v6
	s_delay_alu instid0(VALU_DEP_2)
	v_and_or_b32 v8, 0x1ff, v9, v8
	v_lshrrev_b32_e32 v6, 8, v7
	v_bfe_u32 v10, v7, 20, 11
	v_lshrrev_b32_e32 v11, 8, v9
	v_cmp_ne_u32_e32 vcc_lo, 0, v4
	v_bfe_u32 v12, v9, 20, 11
	v_lshrrev_b32_e32 v7, 16, v7
	v_sub_nc_u32_e32 v13, 0x3f1, v10
	v_add_nc_u32_e32 v10, 0xfffffc10, v10
	s_wait_alu 0xfffd
	v_cndmask_b32_e64 v4, 0, 1, vcc_lo
	v_cmp_ne_u32_e32 vcc_lo, 0, v8
	v_lshrrev_b32_e32 v9, 16, v9
	s_delay_alu instid0(VALU_DEP_3) | instskip(SKIP_4) | instid1(VALU_DEP_3)
	v_and_or_b32 v4, 0xffe, v6, v4
	s_wait_alu 0xfffd
	v_cndmask_b32_e64 v8, 0, 1, vcc_lo
	v_sub_nc_u32_e32 v6, 0x3f1, v12
	v_add_nc_u32_e32 v12, 0xfffffc10, v12
	v_and_or_b32 v8, 0xffe, v11, v8
	v_med3_i32 v11, v13, 0, 13
	v_or_b32_e32 v13, 0x1000, v4
	v_med3_i32 v6, v6, 0, 13
	s_delay_alu instid0(VALU_DEP_4) | instskip(NEXT) | instid1(VALU_DEP_3)
	v_or_b32_e32 v14, 0x1000, v8
	v_lshrrev_b32_e32 v15, v11, v13
	s_delay_alu instid0(VALU_DEP_2) | instskip(NEXT) | instid1(VALU_DEP_2)
	v_lshrrev_b32_e32 v16, v6, v14
	v_lshlrev_b32_e32 v11, v11, v15
	s_delay_alu instid0(VALU_DEP_2) | instskip(NEXT) | instid1(VALU_DEP_2)
	v_lshlrev_b32_e32 v6, v6, v16
	v_cmp_ne_u32_e32 vcc_lo, v11, v13
	v_lshl_or_b32 v13, v10, 12, v4
	s_wait_alu 0xfffd
	v_cndmask_b32_e64 v11, 0, 1, vcc_lo
	v_cmp_ne_u32_e32 vcc_lo, v6, v14
	v_lshl_or_b32 v14, v12, 12, v8
	s_delay_alu instid0(VALU_DEP_3) | instskip(SKIP_3) | instid1(VALU_DEP_2)
	v_or_b32_e32 v11, v15, v11
	s_wait_alu 0xfffd
	v_cndmask_b32_e64 v6, 0, 1, vcc_lo
	v_cmp_gt_i32_e32 vcc_lo, 1, v10
	v_or_b32_e32 v6, v16, v6
	s_wait_alu 0xfffd
	v_cndmask_b32_e32 v11, v13, v11, vcc_lo
	v_cmp_gt_i32_e32 vcc_lo, 1, v12
	s_wait_alu 0xfffd
	s_delay_alu instid0(VALU_DEP_2) | instskip(SKIP_2) | instid1(VALU_DEP_3)
	v_dual_cndmask_b32 v6, v14, v6 :: v_dual_and_b32 v13, 7, v11
	v_cmp_ne_u32_e32 vcc_lo, 0, v4
	v_lshrrev_b32_e32 v11, 2, v11
	v_cmp_eq_u32_e64 s0, 3, v13
	s_delay_alu instid0(VALU_DEP_4)
	v_and_b32_e32 v14, 7, v6
	s_wait_alu 0xfffd
	v_cndmask_b32_e64 v4, 0, 1, vcc_lo
	v_cmp_ne_u32_e32 vcc_lo, 0, v8
	v_lshrrev_b32_e32 v6, 2, v6
	v_cmp_lt_i32_e64 s1, 5, v14
	v_cmp_eq_u32_e64 s2, 3, v14
	s_wait_alu 0xfffd
	v_cndmask_b32_e64 v8, 0, 1, vcc_lo
	v_cmp_lt_i32_e32 vcc_lo, 5, v13
	v_lshl_or_b32 v4, v4, 9, 0x7c00
	s_delay_alu instid0(VALU_DEP_3)
	v_lshl_or_b32 v8, v8, 9, 0x7c00
	s_or_b32 vcc_lo, s0, vcc_lo
	s_wait_alu 0xfffe
	v_add_co_ci_u32_e32 v11, vcc_lo, 0, v11, vcc_lo
	s_or_b32 vcc_lo, s2, s1
	s_wait_alu 0xfffe
	v_add_co_ci_u32_e32 v6, vcc_lo, 0, v6, vcc_lo
	v_cmp_gt_i32_e32 vcc_lo, 31, v10
	s_wait_alu 0xfffd
	v_cndmask_b32_e32 v11, 0x7c00, v11, vcc_lo
	v_cmp_gt_i32_e32 vcc_lo, 31, v12
	s_wait_alu 0xfffd
	v_cndmask_b32_e32 v6, 0x7c00, v6, vcc_lo
	v_cmp_eq_u32_e32 vcc_lo, 0x40f, v10
	s_wait_alu 0xfffd
	v_cndmask_b32_e32 v4, v11, v4, vcc_lo
	v_cmp_eq_u32_e32 vcc_lo, 0x40f, v12
	s_delay_alu instid0(VALU_DEP_2)
	v_and_or_b32 v4, 0x8000, v7, v4
	s_wait_alu 0xfffd
	v_cndmask_b32_e32 v6, v6, v8, vcc_lo
	v_add_co_u32 v2, vcc_lo, v2, s6
	s_wait_alu 0xfffd
	v_add_co_ci_u32_e32 v3, vcc_lo, s7, v3, vcc_lo
	s_delay_alu instid0(VALU_DEP_3) | instskip(SKIP_1) | instid1(VALU_DEP_1)
	v_and_or_b32 v6, 0x8000, v9, v6
	v_and_b32_e32 v4, 0xffff, v4
	v_lshl_or_b32 v4, v6, 16, v4
	v_lshrrev_b32_e32 v6, 16, v5
	global_store_b32 v[2:3], v4, off
	global_load_b32 v4, v27, s[12:13] offset:144
	s_wait_loadcnt 0x0
	v_lshrrev_b32_e32 v7, 16, v4
	s_delay_alu instid0(VALU_DEP_1) | instskip(SKIP_1) | instid1(VALU_DEP_2)
	v_mul_f16_e32 v8, v6, v7
	v_mul_f16_e32 v7, v5, v7
	v_fmac_f16_e32 v8, v5, v4
	s_delay_alu instid0(VALU_DEP_2) | instskip(NEXT) | instid1(VALU_DEP_2)
	v_fma_f16 v4, v4, v6, -v7
	v_cvt_f32_f16_e32 v5, v8
	s_delay_alu instid0(VALU_DEP_2) | instskip(NEXT) | instid1(VALU_DEP_2)
	v_cvt_f32_f16_e32 v6, v4
	v_cvt_f64_f32_e32 v[4:5], v5
	s_delay_alu instid0(VALU_DEP_2) | instskip(NEXT) | instid1(VALU_DEP_2)
	v_cvt_f64_f32_e32 v[6:7], v6
	v_mul_f64_e32 v[4:5], s[8:9], v[4:5]
	s_delay_alu instid0(VALU_DEP_2) | instskip(NEXT) | instid1(VALU_DEP_2)
	v_mul_f64_e32 v[6:7], s[8:9], v[6:7]
	v_and_or_b32 v4, 0x1ff, v5, v4
	s_delay_alu instid0(VALU_DEP_2)
	v_and_or_b32 v6, 0x1ff, v7, v6
	v_lshrrev_b32_e32 v8, 8, v5
	v_bfe_u32 v9, v5, 20, 11
	v_lshrrev_b32_e32 v10, 8, v7
	v_cmp_ne_u32_e32 vcc_lo, 0, v4
	v_bfe_u32 v11, v7, 20, 11
	v_lshrrev_b32_e32 v5, 16, v5
	v_sub_nc_u32_e32 v12, 0x3f1, v9
	v_add_nc_u32_e32 v9, 0xfffffc10, v9
	s_wait_alu 0xfffd
	v_cndmask_b32_e64 v4, 0, 1, vcc_lo
	v_cmp_ne_u32_e32 vcc_lo, 0, v6
	v_lshrrev_b32_e32 v7, 16, v7
	s_delay_alu instid0(VALU_DEP_3) | instskip(SKIP_4) | instid1(VALU_DEP_3)
	v_and_or_b32 v4, 0xffe, v8, v4
	s_wait_alu 0xfffd
	v_cndmask_b32_e64 v6, 0, 1, vcc_lo
	v_sub_nc_u32_e32 v8, 0x3f1, v11
	v_add_nc_u32_e32 v11, 0xfffffc10, v11
	v_and_or_b32 v6, 0xffe, v10, v6
	v_med3_i32 v10, v12, 0, 13
	v_or_b32_e32 v12, 0x1000, v4
	v_med3_i32 v8, v8, 0, 13
	s_delay_alu instid0(VALU_DEP_4) | instskip(NEXT) | instid1(VALU_DEP_3)
	v_or_b32_e32 v13, 0x1000, v6
	v_lshrrev_b32_e32 v14, v10, v12
	s_delay_alu instid0(VALU_DEP_2) | instskip(NEXT) | instid1(VALU_DEP_2)
	v_lshrrev_b32_e32 v15, v8, v13
	v_lshlrev_b32_e32 v10, v10, v14
	s_delay_alu instid0(VALU_DEP_2) | instskip(NEXT) | instid1(VALU_DEP_2)
	v_lshlrev_b32_e32 v8, v8, v15
	v_cmp_ne_u32_e32 vcc_lo, v10, v12
	v_lshl_or_b32 v12, v9, 12, v4
	s_wait_alu 0xfffd
	v_cndmask_b32_e64 v10, 0, 1, vcc_lo
	v_cmp_ne_u32_e32 vcc_lo, v8, v13
	v_lshl_or_b32 v13, v11, 12, v6
	s_delay_alu instid0(VALU_DEP_3) | instskip(SKIP_3) | instid1(VALU_DEP_2)
	v_or_b32_e32 v10, v14, v10
	s_wait_alu 0xfffd
	v_cndmask_b32_e64 v8, 0, 1, vcc_lo
	v_cmp_gt_i32_e32 vcc_lo, 1, v9
	v_or_b32_e32 v8, v15, v8
	s_wait_alu 0xfffd
	v_cndmask_b32_e32 v10, v12, v10, vcc_lo
	v_cmp_gt_i32_e32 vcc_lo, 1, v11
	s_delay_alu instid0(VALU_DEP_2)
	v_and_b32_e32 v12, 7, v10
	s_wait_alu 0xfffd
	v_cndmask_b32_e32 v8, v13, v8, vcc_lo
	v_cmp_ne_u32_e32 vcc_lo, 0, v4
	v_lshrrev_b32_e32 v10, 2, v10
	v_cmp_eq_u32_e64 s0, 3, v12
	s_delay_alu instid0(VALU_DEP_4)
	v_and_b32_e32 v13, 7, v8
	s_wait_alu 0xfffd
	v_cndmask_b32_e64 v4, 0, 1, vcc_lo
	v_cmp_ne_u32_e32 vcc_lo, 0, v6
	v_lshrrev_b32_e32 v8, 2, v8
	v_cmp_lt_i32_e64 s1, 5, v13
	v_cmp_eq_u32_e64 s2, 3, v13
	s_wait_alu 0xfffd
	v_cndmask_b32_e64 v6, 0, 1, vcc_lo
	v_cmp_lt_i32_e32 vcc_lo, 5, v12
	v_lshl_or_b32 v4, v4, 9, 0x7c00
	s_delay_alu instid0(VALU_DEP_3)
	v_lshl_or_b32 v6, v6, 9, 0x7c00
	s_or_b32 vcc_lo, s0, vcc_lo
	s_wait_alu 0xfffe
	v_add_co_ci_u32_e32 v10, vcc_lo, 0, v10, vcc_lo
	s_or_b32 vcc_lo, s2, s1
	s_wait_alu 0xfffe
	v_add_co_ci_u32_e32 v8, vcc_lo, 0, v8, vcc_lo
	v_cmp_gt_i32_e32 vcc_lo, 31, v9
	s_wait_alu 0xfffd
	v_cndmask_b32_e32 v10, 0x7c00, v10, vcc_lo
	v_cmp_gt_i32_e32 vcc_lo, 31, v11
	s_wait_alu 0xfffd
	v_cndmask_b32_e32 v8, 0x7c00, v8, vcc_lo
	v_cmp_eq_u32_e32 vcc_lo, 0x40f, v9
	s_wait_alu 0xfffd
	v_cndmask_b32_e32 v4, v10, v4, vcc_lo
	v_cmp_eq_u32_e32 vcc_lo, 0x40f, v11
	s_delay_alu instid0(VALU_DEP_2)
	v_and_or_b32 v4, 0x8000, v5, v4
	s_wait_alu 0xfffd
	v_cndmask_b32_e32 v6, v8, v6, vcc_lo
	v_add_co_u32 v2, vcc_lo, v2, s6
	s_wait_alu 0xfffd
	v_add_co_ci_u32_e32 v3, vcc_lo, s7, v3, vcc_lo
	s_delay_alu instid0(VALU_DEP_3) | instskip(SKIP_1) | instid1(VALU_DEP_1)
	v_and_or_b32 v5, 0x8000, v7, v6
	v_and_b32_e32 v4, 0xffff, v4
	v_lshl_or_b32 v4, v5, 16, v4
	global_store_b32 v[2:3], v4, off
	global_load_b32 v6, v27, s[12:13] offset:216
	ds_load_2addr_b32 v[4:5], v25 offset0:54 offset1:72
	s_wait_dscnt 0x0
	v_lshrrev_b32_e32 v7, 16, v4
	s_wait_loadcnt 0x0
	v_lshrrev_b32_e32 v8, 16, v6
	s_delay_alu instid0(VALU_DEP_1) | instskip(SKIP_1) | instid1(VALU_DEP_2)
	v_mul_f16_e32 v9, v7, v8
	v_mul_f16_e32 v8, v4, v8
	v_fmac_f16_e32 v9, v4, v6
	s_delay_alu instid0(VALU_DEP_2) | instskip(NEXT) | instid1(VALU_DEP_2)
	v_fma_f16 v4, v6, v7, -v8
	v_cvt_f32_f16_e32 v6, v9
	s_delay_alu instid0(VALU_DEP_2) | instskip(NEXT) | instid1(VALU_DEP_2)
	v_cvt_f32_f16_e32 v4, v4
	v_cvt_f64_f32_e32 v[6:7], v6
	s_delay_alu instid0(VALU_DEP_2) | instskip(NEXT) | instid1(VALU_DEP_2)
	v_cvt_f64_f32_e32 v[8:9], v4
	v_mul_f64_e32 v[6:7], s[8:9], v[6:7]
	s_delay_alu instid0(VALU_DEP_2) | instskip(NEXT) | instid1(VALU_DEP_2)
	v_mul_f64_e32 v[8:9], s[8:9], v[8:9]
	v_and_or_b32 v4, 0x1ff, v7, v6
	s_delay_alu instid0(VALU_DEP_2)
	v_and_or_b32 v8, 0x1ff, v9, v8
	v_lshrrev_b32_e32 v6, 8, v7
	v_bfe_u32 v10, v7, 20, 11
	v_lshrrev_b32_e32 v11, 8, v9
	v_cmp_ne_u32_e32 vcc_lo, 0, v4
	v_bfe_u32 v12, v9, 20, 11
	v_lshrrev_b32_e32 v7, 16, v7
	v_sub_nc_u32_e32 v13, 0x3f1, v10
	v_add_nc_u32_e32 v10, 0xfffffc10, v10
	s_wait_alu 0xfffd
	v_cndmask_b32_e64 v4, 0, 1, vcc_lo
	v_cmp_ne_u32_e32 vcc_lo, 0, v8
	v_lshrrev_b32_e32 v9, 16, v9
	s_delay_alu instid0(VALU_DEP_3) | instskip(SKIP_4) | instid1(VALU_DEP_3)
	v_and_or_b32 v4, 0xffe, v6, v4
	s_wait_alu 0xfffd
	v_cndmask_b32_e64 v8, 0, 1, vcc_lo
	v_sub_nc_u32_e32 v6, 0x3f1, v12
	v_add_nc_u32_e32 v12, 0xfffffc10, v12
	v_and_or_b32 v8, 0xffe, v11, v8
	v_med3_i32 v11, v13, 0, 13
	v_or_b32_e32 v13, 0x1000, v4
	v_med3_i32 v6, v6, 0, 13
	s_delay_alu instid0(VALU_DEP_4) | instskip(NEXT) | instid1(VALU_DEP_3)
	v_or_b32_e32 v14, 0x1000, v8
	v_lshrrev_b32_e32 v15, v11, v13
	s_delay_alu instid0(VALU_DEP_2) | instskip(NEXT) | instid1(VALU_DEP_2)
	v_lshrrev_b32_e32 v16, v6, v14
	v_lshlrev_b32_e32 v11, v11, v15
	s_delay_alu instid0(VALU_DEP_2) | instskip(NEXT) | instid1(VALU_DEP_2)
	v_lshlrev_b32_e32 v6, v6, v16
	v_cmp_ne_u32_e32 vcc_lo, v11, v13
	v_lshl_or_b32 v13, v10, 12, v4
	s_wait_alu 0xfffd
	v_cndmask_b32_e64 v11, 0, 1, vcc_lo
	v_cmp_ne_u32_e32 vcc_lo, v6, v14
	v_lshl_or_b32 v14, v12, 12, v8
	s_delay_alu instid0(VALU_DEP_3) | instskip(SKIP_3) | instid1(VALU_DEP_2)
	v_or_b32_e32 v11, v15, v11
	s_wait_alu 0xfffd
	v_cndmask_b32_e64 v6, 0, 1, vcc_lo
	v_cmp_gt_i32_e32 vcc_lo, 1, v10
	v_or_b32_e32 v6, v16, v6
	s_wait_alu 0xfffd
	v_cndmask_b32_e32 v11, v13, v11, vcc_lo
	v_cmp_gt_i32_e32 vcc_lo, 1, v12
	s_wait_alu 0xfffd
	s_delay_alu instid0(VALU_DEP_2) | instskip(SKIP_2) | instid1(VALU_DEP_3)
	v_dual_cndmask_b32 v6, v14, v6 :: v_dual_and_b32 v13, 7, v11
	v_cmp_ne_u32_e32 vcc_lo, 0, v4
	v_lshrrev_b32_e32 v11, 2, v11
	v_cmp_eq_u32_e64 s0, 3, v13
	s_delay_alu instid0(VALU_DEP_4)
	v_and_b32_e32 v14, 7, v6
	s_wait_alu 0xfffd
	v_cndmask_b32_e64 v4, 0, 1, vcc_lo
	v_cmp_ne_u32_e32 vcc_lo, 0, v8
	v_lshrrev_b32_e32 v6, 2, v6
	v_cmp_lt_i32_e64 s1, 5, v14
	v_cmp_eq_u32_e64 s2, 3, v14
	s_wait_alu 0xfffd
	v_cndmask_b32_e64 v8, 0, 1, vcc_lo
	v_cmp_lt_i32_e32 vcc_lo, 5, v13
	v_lshl_or_b32 v4, v4, 9, 0x7c00
	s_delay_alu instid0(VALU_DEP_3)
	v_lshl_or_b32 v8, v8, 9, 0x7c00
	s_or_b32 vcc_lo, s0, vcc_lo
	s_wait_alu 0xfffe
	v_add_co_ci_u32_e32 v11, vcc_lo, 0, v11, vcc_lo
	s_or_b32 vcc_lo, s2, s1
	s_wait_alu 0xfffe
	v_add_co_ci_u32_e32 v6, vcc_lo, 0, v6, vcc_lo
	v_cmp_gt_i32_e32 vcc_lo, 31, v10
	s_wait_alu 0xfffd
	v_cndmask_b32_e32 v11, 0x7c00, v11, vcc_lo
	v_cmp_gt_i32_e32 vcc_lo, 31, v12
	s_wait_alu 0xfffd
	v_cndmask_b32_e32 v6, 0x7c00, v6, vcc_lo
	v_cmp_eq_u32_e32 vcc_lo, 0x40f, v10
	s_wait_alu 0xfffd
	v_cndmask_b32_e32 v4, v11, v4, vcc_lo
	v_cmp_eq_u32_e32 vcc_lo, 0x40f, v12
	s_delay_alu instid0(VALU_DEP_2)
	v_and_or_b32 v4, 0x8000, v7, v4
	s_wait_alu 0xfffd
	v_cndmask_b32_e32 v6, v6, v8, vcc_lo
	v_add_co_u32 v2, vcc_lo, v2, s6
	s_wait_alu 0xfffd
	v_add_co_ci_u32_e32 v3, vcc_lo, s7, v3, vcc_lo
	s_delay_alu instid0(VALU_DEP_3) | instskip(SKIP_1) | instid1(VALU_DEP_1)
	v_and_or_b32 v6, 0x8000, v9, v6
	v_and_b32_e32 v4, 0xffff, v4
	v_lshl_or_b32 v4, v6, 16, v4
	v_lshrrev_b32_e32 v6, 16, v5
	global_store_b32 v[2:3], v4, off
	global_load_b32 v4, v27, s[12:13] offset:288
	s_wait_loadcnt 0x0
	v_lshrrev_b32_e32 v7, 16, v4
	s_delay_alu instid0(VALU_DEP_1) | instskip(SKIP_1) | instid1(VALU_DEP_2)
	v_mul_f16_e32 v8, v6, v7
	v_mul_f16_e32 v7, v5, v7
	v_fmac_f16_e32 v8, v5, v4
	s_delay_alu instid0(VALU_DEP_2) | instskip(NEXT) | instid1(VALU_DEP_2)
	v_fma_f16 v4, v4, v6, -v7
	v_cvt_f32_f16_e32 v5, v8
	s_delay_alu instid0(VALU_DEP_2) | instskip(NEXT) | instid1(VALU_DEP_2)
	v_cvt_f32_f16_e32 v6, v4
	v_cvt_f64_f32_e32 v[4:5], v5
	s_delay_alu instid0(VALU_DEP_2) | instskip(NEXT) | instid1(VALU_DEP_2)
	v_cvt_f64_f32_e32 v[6:7], v6
	v_mul_f64_e32 v[4:5], s[8:9], v[4:5]
	s_delay_alu instid0(VALU_DEP_2) | instskip(NEXT) | instid1(VALU_DEP_2)
	v_mul_f64_e32 v[6:7], s[8:9], v[6:7]
	v_and_or_b32 v4, 0x1ff, v5, v4
	s_delay_alu instid0(VALU_DEP_2)
	v_and_or_b32 v6, 0x1ff, v7, v6
	v_lshrrev_b32_e32 v8, 8, v5
	v_bfe_u32 v9, v5, 20, 11
	v_lshrrev_b32_e32 v10, 8, v7
	v_cmp_ne_u32_e32 vcc_lo, 0, v4
	v_bfe_u32 v11, v7, 20, 11
	v_lshrrev_b32_e32 v5, 16, v5
	v_sub_nc_u32_e32 v12, 0x3f1, v9
	v_add_nc_u32_e32 v9, 0xfffffc10, v9
	s_wait_alu 0xfffd
	v_cndmask_b32_e64 v4, 0, 1, vcc_lo
	v_cmp_ne_u32_e32 vcc_lo, 0, v6
	v_lshrrev_b32_e32 v7, 16, v7
	s_delay_alu instid0(VALU_DEP_3) | instskip(SKIP_4) | instid1(VALU_DEP_3)
	v_and_or_b32 v4, 0xffe, v8, v4
	s_wait_alu 0xfffd
	v_cndmask_b32_e64 v6, 0, 1, vcc_lo
	v_sub_nc_u32_e32 v8, 0x3f1, v11
	v_add_nc_u32_e32 v11, 0xfffffc10, v11
	v_and_or_b32 v6, 0xffe, v10, v6
	v_med3_i32 v10, v12, 0, 13
	v_or_b32_e32 v12, 0x1000, v4
	v_med3_i32 v8, v8, 0, 13
	s_delay_alu instid0(VALU_DEP_4) | instskip(NEXT) | instid1(VALU_DEP_3)
	v_or_b32_e32 v13, 0x1000, v6
	v_lshrrev_b32_e32 v14, v10, v12
	s_delay_alu instid0(VALU_DEP_2) | instskip(NEXT) | instid1(VALU_DEP_2)
	v_lshrrev_b32_e32 v15, v8, v13
	v_lshlrev_b32_e32 v10, v10, v14
	s_delay_alu instid0(VALU_DEP_2) | instskip(NEXT) | instid1(VALU_DEP_2)
	v_lshlrev_b32_e32 v8, v8, v15
	v_cmp_ne_u32_e32 vcc_lo, v10, v12
	v_lshl_or_b32 v12, v9, 12, v4
	s_wait_alu 0xfffd
	v_cndmask_b32_e64 v10, 0, 1, vcc_lo
	v_cmp_ne_u32_e32 vcc_lo, v8, v13
	v_lshl_or_b32 v13, v11, 12, v6
	s_delay_alu instid0(VALU_DEP_3) | instskip(SKIP_3) | instid1(VALU_DEP_2)
	v_or_b32_e32 v10, v14, v10
	s_wait_alu 0xfffd
	v_cndmask_b32_e64 v8, 0, 1, vcc_lo
	v_cmp_gt_i32_e32 vcc_lo, 1, v9
	v_or_b32_e32 v8, v15, v8
	s_wait_alu 0xfffd
	v_cndmask_b32_e32 v10, v12, v10, vcc_lo
	v_cmp_gt_i32_e32 vcc_lo, 1, v11
	s_delay_alu instid0(VALU_DEP_2)
	v_and_b32_e32 v12, 7, v10
	s_wait_alu 0xfffd
	v_cndmask_b32_e32 v8, v13, v8, vcc_lo
	v_cmp_ne_u32_e32 vcc_lo, 0, v4
	v_lshrrev_b32_e32 v10, 2, v10
	v_cmp_eq_u32_e64 s0, 3, v12
	s_delay_alu instid0(VALU_DEP_4)
	v_and_b32_e32 v13, 7, v8
	s_wait_alu 0xfffd
	v_cndmask_b32_e64 v4, 0, 1, vcc_lo
	v_cmp_ne_u32_e32 vcc_lo, 0, v6
	v_lshrrev_b32_e32 v8, 2, v8
	v_cmp_lt_i32_e64 s1, 5, v13
	v_cmp_eq_u32_e64 s2, 3, v13
	s_wait_alu 0xfffd
	v_cndmask_b32_e64 v6, 0, 1, vcc_lo
	v_cmp_lt_i32_e32 vcc_lo, 5, v12
	v_lshl_or_b32 v4, v4, 9, 0x7c00
	s_delay_alu instid0(VALU_DEP_3)
	v_lshl_or_b32 v6, v6, 9, 0x7c00
	s_or_b32 vcc_lo, s0, vcc_lo
	s_wait_alu 0xfffe
	v_add_co_ci_u32_e32 v10, vcc_lo, 0, v10, vcc_lo
	s_or_b32 vcc_lo, s2, s1
	s_wait_alu 0xfffe
	v_add_co_ci_u32_e32 v8, vcc_lo, 0, v8, vcc_lo
	v_cmp_gt_i32_e32 vcc_lo, 31, v9
	s_wait_alu 0xfffd
	v_cndmask_b32_e32 v10, 0x7c00, v10, vcc_lo
	v_cmp_gt_i32_e32 vcc_lo, 31, v11
	s_wait_alu 0xfffd
	v_cndmask_b32_e32 v8, 0x7c00, v8, vcc_lo
	v_cmp_eq_u32_e32 vcc_lo, 0x40f, v9
	s_wait_alu 0xfffd
	v_cndmask_b32_e32 v4, v10, v4, vcc_lo
	v_cmp_eq_u32_e32 vcc_lo, 0x40f, v11
	s_delay_alu instid0(VALU_DEP_2)
	v_and_or_b32 v4, 0x8000, v5, v4
	s_wait_alu 0xfffd
	v_cndmask_b32_e32 v6, v8, v6, vcc_lo
	v_add_co_u32 v2, vcc_lo, v2, s6
	s_wait_alu 0xfffd
	v_add_co_ci_u32_e32 v3, vcc_lo, s7, v3, vcc_lo
	s_delay_alu instid0(VALU_DEP_3) | instskip(SKIP_1) | instid1(VALU_DEP_1)
	v_and_or_b32 v5, 0x8000, v7, v6
	v_and_b32_e32 v4, 0xffff, v4
	v_lshl_or_b32 v4, v5, 16, v4
	global_store_b32 v[2:3], v4, off
	global_load_b32 v6, v27, s[12:13] offset:360
	ds_load_2addr_b32 v[4:5], v25 offset0:90 offset1:108
	s_wait_dscnt 0x0
	v_lshrrev_b32_e32 v7, 16, v4
	s_wait_loadcnt 0x0
	v_lshrrev_b32_e32 v8, 16, v6
	s_delay_alu instid0(VALU_DEP_1) | instskip(SKIP_1) | instid1(VALU_DEP_2)
	v_mul_f16_e32 v9, v7, v8
	v_mul_f16_e32 v8, v4, v8
	v_fmac_f16_e32 v9, v4, v6
	s_delay_alu instid0(VALU_DEP_2) | instskip(NEXT) | instid1(VALU_DEP_2)
	v_fma_f16 v4, v6, v7, -v8
	v_cvt_f32_f16_e32 v6, v9
	s_delay_alu instid0(VALU_DEP_2) | instskip(NEXT) | instid1(VALU_DEP_2)
	v_cvt_f32_f16_e32 v4, v4
	v_cvt_f64_f32_e32 v[6:7], v6
	s_delay_alu instid0(VALU_DEP_2) | instskip(NEXT) | instid1(VALU_DEP_2)
	v_cvt_f64_f32_e32 v[8:9], v4
	v_mul_f64_e32 v[6:7], s[8:9], v[6:7]
	s_delay_alu instid0(VALU_DEP_2) | instskip(NEXT) | instid1(VALU_DEP_2)
	v_mul_f64_e32 v[8:9], s[8:9], v[8:9]
	v_and_or_b32 v4, 0x1ff, v7, v6
	s_delay_alu instid0(VALU_DEP_2)
	v_and_or_b32 v8, 0x1ff, v9, v8
	v_lshrrev_b32_e32 v6, 8, v7
	v_bfe_u32 v10, v7, 20, 11
	v_lshrrev_b32_e32 v11, 8, v9
	v_cmp_ne_u32_e32 vcc_lo, 0, v4
	v_bfe_u32 v12, v9, 20, 11
	v_lshrrev_b32_e32 v7, 16, v7
	v_sub_nc_u32_e32 v13, 0x3f1, v10
	v_add_nc_u32_e32 v10, 0xfffffc10, v10
	s_wait_alu 0xfffd
	v_cndmask_b32_e64 v4, 0, 1, vcc_lo
	v_cmp_ne_u32_e32 vcc_lo, 0, v8
	v_lshrrev_b32_e32 v9, 16, v9
	s_delay_alu instid0(VALU_DEP_3) | instskip(SKIP_4) | instid1(VALU_DEP_3)
	v_and_or_b32 v4, 0xffe, v6, v4
	s_wait_alu 0xfffd
	v_cndmask_b32_e64 v8, 0, 1, vcc_lo
	v_sub_nc_u32_e32 v6, 0x3f1, v12
	v_add_nc_u32_e32 v12, 0xfffffc10, v12
	v_and_or_b32 v8, 0xffe, v11, v8
	v_med3_i32 v11, v13, 0, 13
	v_or_b32_e32 v13, 0x1000, v4
	v_med3_i32 v6, v6, 0, 13
	s_delay_alu instid0(VALU_DEP_4) | instskip(NEXT) | instid1(VALU_DEP_3)
	v_or_b32_e32 v14, 0x1000, v8
	v_lshrrev_b32_e32 v15, v11, v13
	s_delay_alu instid0(VALU_DEP_2) | instskip(NEXT) | instid1(VALU_DEP_2)
	v_lshrrev_b32_e32 v16, v6, v14
	v_lshlrev_b32_e32 v11, v11, v15
	s_delay_alu instid0(VALU_DEP_2) | instskip(NEXT) | instid1(VALU_DEP_2)
	v_lshlrev_b32_e32 v6, v6, v16
	v_cmp_ne_u32_e32 vcc_lo, v11, v13
	v_lshl_or_b32 v13, v10, 12, v4
	s_wait_alu 0xfffd
	v_cndmask_b32_e64 v11, 0, 1, vcc_lo
	v_cmp_ne_u32_e32 vcc_lo, v6, v14
	v_lshl_or_b32 v14, v12, 12, v8
	s_delay_alu instid0(VALU_DEP_3) | instskip(SKIP_3) | instid1(VALU_DEP_2)
	v_or_b32_e32 v11, v15, v11
	s_wait_alu 0xfffd
	v_cndmask_b32_e64 v6, 0, 1, vcc_lo
	v_cmp_gt_i32_e32 vcc_lo, 1, v10
	v_or_b32_e32 v6, v16, v6
	s_wait_alu 0xfffd
	v_cndmask_b32_e32 v11, v13, v11, vcc_lo
	v_cmp_gt_i32_e32 vcc_lo, 1, v12
	s_wait_alu 0xfffd
	s_delay_alu instid0(VALU_DEP_2) | instskip(SKIP_2) | instid1(VALU_DEP_3)
	v_dual_cndmask_b32 v6, v14, v6 :: v_dual_and_b32 v13, 7, v11
	v_cmp_ne_u32_e32 vcc_lo, 0, v4
	v_lshrrev_b32_e32 v11, 2, v11
	v_cmp_eq_u32_e64 s0, 3, v13
	s_delay_alu instid0(VALU_DEP_4)
	v_and_b32_e32 v14, 7, v6
	s_wait_alu 0xfffd
	v_cndmask_b32_e64 v4, 0, 1, vcc_lo
	v_cmp_ne_u32_e32 vcc_lo, 0, v8
	v_lshrrev_b32_e32 v6, 2, v6
	v_cmp_lt_i32_e64 s1, 5, v14
	v_cmp_eq_u32_e64 s2, 3, v14
	s_wait_alu 0xfffd
	v_cndmask_b32_e64 v8, 0, 1, vcc_lo
	v_cmp_lt_i32_e32 vcc_lo, 5, v13
	v_lshl_or_b32 v4, v4, 9, 0x7c00
	s_delay_alu instid0(VALU_DEP_3)
	v_lshl_or_b32 v8, v8, 9, 0x7c00
	s_or_b32 vcc_lo, s0, vcc_lo
	s_wait_alu 0xfffe
	v_add_co_ci_u32_e32 v11, vcc_lo, 0, v11, vcc_lo
	s_or_b32 vcc_lo, s2, s1
	s_wait_alu 0xfffe
	v_add_co_ci_u32_e32 v6, vcc_lo, 0, v6, vcc_lo
	v_cmp_gt_i32_e32 vcc_lo, 31, v10
	s_wait_alu 0xfffd
	v_cndmask_b32_e32 v11, 0x7c00, v11, vcc_lo
	v_cmp_gt_i32_e32 vcc_lo, 31, v12
	s_wait_alu 0xfffd
	v_cndmask_b32_e32 v6, 0x7c00, v6, vcc_lo
	v_cmp_eq_u32_e32 vcc_lo, 0x40f, v10
	s_wait_alu 0xfffd
	v_cndmask_b32_e32 v4, v11, v4, vcc_lo
	v_cmp_eq_u32_e32 vcc_lo, 0x40f, v12
	s_delay_alu instid0(VALU_DEP_2)
	v_and_or_b32 v4, 0x8000, v7, v4
	s_wait_alu 0xfffd
	v_cndmask_b32_e32 v6, v6, v8, vcc_lo
	v_add_co_u32 v2, vcc_lo, v2, s6
	s_wait_alu 0xfffd
	v_add_co_ci_u32_e32 v3, vcc_lo, s7, v3, vcc_lo
	s_delay_alu instid0(VALU_DEP_3) | instskip(SKIP_1) | instid1(VALU_DEP_1)
	v_and_or_b32 v6, 0x8000, v9, v6
	v_and_b32_e32 v4, 0xffff, v4
	v_lshl_or_b32 v4, v6, 16, v4
	v_lshrrev_b32_e32 v6, 16, v5
	global_store_b32 v[2:3], v4, off
	global_load_b32 v4, v27, s[12:13] offset:432
	s_wait_loadcnt 0x0
	v_lshrrev_b32_e32 v7, 16, v4
	s_delay_alu instid0(VALU_DEP_1) | instskip(SKIP_1) | instid1(VALU_DEP_2)
	v_mul_f16_e32 v8, v6, v7
	v_mul_f16_e32 v7, v5, v7
	v_fmac_f16_e32 v8, v5, v4
	s_delay_alu instid0(VALU_DEP_2) | instskip(NEXT) | instid1(VALU_DEP_2)
	v_fma_f16 v4, v4, v6, -v7
	v_cvt_f32_f16_e32 v5, v8
	s_delay_alu instid0(VALU_DEP_2) | instskip(NEXT) | instid1(VALU_DEP_2)
	v_cvt_f32_f16_e32 v6, v4
	v_cvt_f64_f32_e32 v[4:5], v5
	s_delay_alu instid0(VALU_DEP_2) | instskip(NEXT) | instid1(VALU_DEP_2)
	v_cvt_f64_f32_e32 v[6:7], v6
	v_mul_f64_e32 v[4:5], s[8:9], v[4:5]
	s_delay_alu instid0(VALU_DEP_2) | instskip(NEXT) | instid1(VALU_DEP_2)
	v_mul_f64_e32 v[6:7], s[8:9], v[6:7]
	v_and_or_b32 v4, 0x1ff, v5, v4
	s_delay_alu instid0(VALU_DEP_2)
	v_and_or_b32 v6, 0x1ff, v7, v6
	v_lshrrev_b32_e32 v8, 8, v5
	v_bfe_u32 v9, v5, 20, 11
	v_lshrrev_b32_e32 v10, 8, v7
	v_cmp_ne_u32_e32 vcc_lo, 0, v4
	v_bfe_u32 v11, v7, 20, 11
	v_lshrrev_b32_e32 v5, 16, v5
	v_sub_nc_u32_e32 v12, 0x3f1, v9
	v_add_nc_u32_e32 v9, 0xfffffc10, v9
	s_wait_alu 0xfffd
	v_cndmask_b32_e64 v4, 0, 1, vcc_lo
	v_cmp_ne_u32_e32 vcc_lo, 0, v6
	v_lshrrev_b32_e32 v7, 16, v7
	s_delay_alu instid0(VALU_DEP_3) | instskip(SKIP_4) | instid1(VALU_DEP_3)
	v_and_or_b32 v4, 0xffe, v8, v4
	s_wait_alu 0xfffd
	v_cndmask_b32_e64 v6, 0, 1, vcc_lo
	v_sub_nc_u32_e32 v8, 0x3f1, v11
	v_add_nc_u32_e32 v11, 0xfffffc10, v11
	v_and_or_b32 v6, 0xffe, v10, v6
	v_med3_i32 v10, v12, 0, 13
	v_or_b32_e32 v12, 0x1000, v4
	v_med3_i32 v8, v8, 0, 13
	s_delay_alu instid0(VALU_DEP_4) | instskip(NEXT) | instid1(VALU_DEP_3)
	v_or_b32_e32 v13, 0x1000, v6
	v_lshrrev_b32_e32 v14, v10, v12
	s_delay_alu instid0(VALU_DEP_2) | instskip(NEXT) | instid1(VALU_DEP_2)
	v_lshrrev_b32_e32 v15, v8, v13
	v_lshlrev_b32_e32 v10, v10, v14
	s_delay_alu instid0(VALU_DEP_2) | instskip(NEXT) | instid1(VALU_DEP_2)
	v_lshlrev_b32_e32 v8, v8, v15
	v_cmp_ne_u32_e32 vcc_lo, v10, v12
	v_lshl_or_b32 v12, v9, 12, v4
	s_wait_alu 0xfffd
	v_cndmask_b32_e64 v10, 0, 1, vcc_lo
	v_cmp_ne_u32_e32 vcc_lo, v8, v13
	v_lshl_or_b32 v13, v11, 12, v6
	s_delay_alu instid0(VALU_DEP_3) | instskip(SKIP_3) | instid1(VALU_DEP_2)
	v_or_b32_e32 v10, v14, v10
	s_wait_alu 0xfffd
	v_cndmask_b32_e64 v8, 0, 1, vcc_lo
	v_cmp_gt_i32_e32 vcc_lo, 1, v9
	v_or_b32_e32 v8, v15, v8
	s_wait_alu 0xfffd
	v_cndmask_b32_e32 v10, v12, v10, vcc_lo
	v_cmp_gt_i32_e32 vcc_lo, 1, v11
	s_delay_alu instid0(VALU_DEP_2)
	v_and_b32_e32 v12, 7, v10
	s_wait_alu 0xfffd
	v_cndmask_b32_e32 v8, v13, v8, vcc_lo
	v_cmp_ne_u32_e32 vcc_lo, 0, v4
	v_lshrrev_b32_e32 v10, 2, v10
	v_cmp_eq_u32_e64 s0, 3, v12
	s_delay_alu instid0(VALU_DEP_4)
	v_and_b32_e32 v13, 7, v8
	s_wait_alu 0xfffd
	v_cndmask_b32_e64 v4, 0, 1, vcc_lo
	v_cmp_ne_u32_e32 vcc_lo, 0, v6
	v_lshrrev_b32_e32 v8, 2, v8
	v_cmp_lt_i32_e64 s1, 5, v13
	v_cmp_eq_u32_e64 s2, 3, v13
	s_wait_alu 0xfffd
	v_cndmask_b32_e64 v6, 0, 1, vcc_lo
	v_cmp_lt_i32_e32 vcc_lo, 5, v12
	v_lshl_or_b32 v4, v4, 9, 0x7c00
	s_delay_alu instid0(VALU_DEP_3)
	v_lshl_or_b32 v6, v6, 9, 0x7c00
	s_or_b32 vcc_lo, s0, vcc_lo
	s_wait_alu 0xfffe
	v_add_co_ci_u32_e32 v10, vcc_lo, 0, v10, vcc_lo
	s_or_b32 vcc_lo, s2, s1
	s_wait_alu 0xfffe
	v_add_co_ci_u32_e32 v8, vcc_lo, 0, v8, vcc_lo
	v_cmp_gt_i32_e32 vcc_lo, 31, v9
	s_wait_alu 0xfffd
	v_cndmask_b32_e32 v10, 0x7c00, v10, vcc_lo
	v_cmp_gt_i32_e32 vcc_lo, 31, v11
	s_wait_alu 0xfffd
	v_cndmask_b32_e32 v8, 0x7c00, v8, vcc_lo
	v_cmp_eq_u32_e32 vcc_lo, 0x40f, v9
	s_wait_alu 0xfffd
	v_cndmask_b32_e32 v4, v10, v4, vcc_lo
	v_cmp_eq_u32_e32 vcc_lo, 0x40f, v11
	s_delay_alu instid0(VALU_DEP_2)
	v_and_or_b32 v4, 0x8000, v5, v4
	s_wait_alu 0xfffd
	v_cndmask_b32_e32 v6, v8, v6, vcc_lo
	v_add_co_u32 v2, vcc_lo, v2, s6
	s_wait_alu 0xfffd
	v_add_co_ci_u32_e32 v3, vcc_lo, s7, v3, vcc_lo
	s_delay_alu instid0(VALU_DEP_3) | instskip(SKIP_1) | instid1(VALU_DEP_1)
	v_and_or_b32 v5, 0x8000, v7, v6
	v_and_b32_e32 v4, 0xffff, v4
	v_lshl_or_b32 v4, v5, 16, v4
	global_store_b32 v[2:3], v4, off
	global_load_b32 v6, v27, s[12:13] offset:504
	ds_load_2addr_b32 v[4:5], v25 offset0:126 offset1:144
	s_wait_dscnt 0x0
	v_lshrrev_b32_e32 v7, 16, v4
	s_wait_loadcnt 0x0
	v_lshrrev_b32_e32 v8, 16, v6
	s_delay_alu instid0(VALU_DEP_1) | instskip(SKIP_1) | instid1(VALU_DEP_2)
	v_mul_f16_e32 v9, v7, v8
	v_mul_f16_e32 v8, v4, v8
	v_fmac_f16_e32 v9, v4, v6
	s_delay_alu instid0(VALU_DEP_2) | instskip(NEXT) | instid1(VALU_DEP_2)
	v_fma_f16 v4, v6, v7, -v8
	v_cvt_f32_f16_e32 v6, v9
	s_delay_alu instid0(VALU_DEP_2) | instskip(NEXT) | instid1(VALU_DEP_2)
	v_cvt_f32_f16_e32 v4, v4
	v_cvt_f64_f32_e32 v[6:7], v6
	s_delay_alu instid0(VALU_DEP_2) | instskip(NEXT) | instid1(VALU_DEP_2)
	v_cvt_f64_f32_e32 v[8:9], v4
	v_mul_f64_e32 v[6:7], s[8:9], v[6:7]
	s_delay_alu instid0(VALU_DEP_2) | instskip(NEXT) | instid1(VALU_DEP_2)
	v_mul_f64_e32 v[8:9], s[8:9], v[8:9]
	v_and_or_b32 v4, 0x1ff, v7, v6
	s_delay_alu instid0(VALU_DEP_2)
	v_and_or_b32 v8, 0x1ff, v9, v8
	v_lshrrev_b32_e32 v6, 8, v7
	v_bfe_u32 v10, v7, 20, 11
	v_lshrrev_b32_e32 v11, 8, v9
	v_cmp_ne_u32_e32 vcc_lo, 0, v4
	v_bfe_u32 v12, v9, 20, 11
	v_lshrrev_b32_e32 v7, 16, v7
	v_sub_nc_u32_e32 v13, 0x3f1, v10
	v_add_nc_u32_e32 v10, 0xfffffc10, v10
	s_wait_alu 0xfffd
	v_cndmask_b32_e64 v4, 0, 1, vcc_lo
	v_cmp_ne_u32_e32 vcc_lo, 0, v8
	v_lshrrev_b32_e32 v9, 16, v9
	s_delay_alu instid0(VALU_DEP_3) | instskip(SKIP_4) | instid1(VALU_DEP_3)
	v_and_or_b32 v4, 0xffe, v6, v4
	s_wait_alu 0xfffd
	v_cndmask_b32_e64 v8, 0, 1, vcc_lo
	v_sub_nc_u32_e32 v6, 0x3f1, v12
	v_add_nc_u32_e32 v12, 0xfffffc10, v12
	v_and_or_b32 v8, 0xffe, v11, v8
	v_med3_i32 v11, v13, 0, 13
	v_or_b32_e32 v13, 0x1000, v4
	v_med3_i32 v6, v6, 0, 13
	s_delay_alu instid0(VALU_DEP_4) | instskip(NEXT) | instid1(VALU_DEP_3)
	v_or_b32_e32 v14, 0x1000, v8
	v_lshrrev_b32_e32 v15, v11, v13
	s_delay_alu instid0(VALU_DEP_2) | instskip(NEXT) | instid1(VALU_DEP_2)
	v_lshrrev_b32_e32 v16, v6, v14
	v_lshlrev_b32_e32 v11, v11, v15
	s_delay_alu instid0(VALU_DEP_2) | instskip(NEXT) | instid1(VALU_DEP_2)
	v_lshlrev_b32_e32 v6, v6, v16
	v_cmp_ne_u32_e32 vcc_lo, v11, v13
	v_lshl_or_b32 v13, v10, 12, v4
	s_wait_alu 0xfffd
	v_cndmask_b32_e64 v11, 0, 1, vcc_lo
	v_cmp_ne_u32_e32 vcc_lo, v6, v14
	v_lshl_or_b32 v14, v12, 12, v8
	s_delay_alu instid0(VALU_DEP_3) | instskip(SKIP_3) | instid1(VALU_DEP_2)
	v_or_b32_e32 v11, v15, v11
	s_wait_alu 0xfffd
	v_cndmask_b32_e64 v6, 0, 1, vcc_lo
	v_cmp_gt_i32_e32 vcc_lo, 1, v10
	v_or_b32_e32 v6, v16, v6
	s_wait_alu 0xfffd
	v_cndmask_b32_e32 v11, v13, v11, vcc_lo
	v_cmp_gt_i32_e32 vcc_lo, 1, v12
	s_wait_alu 0xfffd
	s_delay_alu instid0(VALU_DEP_2) | instskip(SKIP_2) | instid1(VALU_DEP_3)
	v_dual_cndmask_b32 v6, v14, v6 :: v_dual_and_b32 v13, 7, v11
	v_cmp_ne_u32_e32 vcc_lo, 0, v4
	v_lshrrev_b32_e32 v11, 2, v11
	v_cmp_eq_u32_e64 s0, 3, v13
	s_delay_alu instid0(VALU_DEP_4)
	v_and_b32_e32 v14, 7, v6
	s_wait_alu 0xfffd
	v_cndmask_b32_e64 v4, 0, 1, vcc_lo
	v_cmp_ne_u32_e32 vcc_lo, 0, v8
	v_lshrrev_b32_e32 v6, 2, v6
	v_cmp_lt_i32_e64 s1, 5, v14
	v_cmp_eq_u32_e64 s2, 3, v14
	s_wait_alu 0xfffd
	v_cndmask_b32_e64 v8, 0, 1, vcc_lo
	v_cmp_lt_i32_e32 vcc_lo, 5, v13
	v_lshl_or_b32 v4, v4, 9, 0x7c00
	s_delay_alu instid0(VALU_DEP_3)
	v_lshl_or_b32 v8, v8, 9, 0x7c00
	s_or_b32 vcc_lo, s0, vcc_lo
	s_wait_alu 0xfffe
	v_add_co_ci_u32_e32 v11, vcc_lo, 0, v11, vcc_lo
	s_or_b32 vcc_lo, s2, s1
	s_wait_alu 0xfffe
	v_add_co_ci_u32_e32 v6, vcc_lo, 0, v6, vcc_lo
	v_cmp_gt_i32_e32 vcc_lo, 31, v10
	s_wait_alu 0xfffd
	v_cndmask_b32_e32 v11, 0x7c00, v11, vcc_lo
	v_cmp_gt_i32_e32 vcc_lo, 31, v12
	s_wait_alu 0xfffd
	v_cndmask_b32_e32 v6, 0x7c00, v6, vcc_lo
	v_cmp_eq_u32_e32 vcc_lo, 0x40f, v10
	s_wait_alu 0xfffd
	v_cndmask_b32_e32 v4, v11, v4, vcc_lo
	v_cmp_eq_u32_e32 vcc_lo, 0x40f, v12
	s_delay_alu instid0(VALU_DEP_2)
	v_and_or_b32 v4, 0x8000, v7, v4
	s_wait_alu 0xfffd
	v_cndmask_b32_e32 v6, v6, v8, vcc_lo
	v_add_co_u32 v2, vcc_lo, v2, s6
	s_wait_alu 0xfffd
	v_add_co_ci_u32_e32 v3, vcc_lo, s7, v3, vcc_lo
	s_delay_alu instid0(VALU_DEP_3) | instskip(SKIP_1) | instid1(VALU_DEP_1)
	v_and_or_b32 v6, 0x8000, v9, v6
	v_and_b32_e32 v4, 0xffff, v4
	v_lshl_or_b32 v4, v6, 16, v4
	v_lshrrev_b32_e32 v6, 16, v5
	global_store_b32 v[2:3], v4, off
	global_load_b32 v4, v27, s[12:13] offset:576
	s_wait_loadcnt 0x0
	v_lshrrev_b32_e32 v7, 16, v4
	s_delay_alu instid0(VALU_DEP_1) | instskip(SKIP_1) | instid1(VALU_DEP_2)
	v_mul_f16_e32 v8, v6, v7
	v_mul_f16_e32 v7, v5, v7
	v_fmac_f16_e32 v8, v5, v4
	s_delay_alu instid0(VALU_DEP_2) | instskip(NEXT) | instid1(VALU_DEP_2)
	v_fma_f16 v4, v4, v6, -v7
	v_cvt_f32_f16_e32 v5, v8
	s_delay_alu instid0(VALU_DEP_2) | instskip(NEXT) | instid1(VALU_DEP_2)
	v_cvt_f32_f16_e32 v6, v4
	v_cvt_f64_f32_e32 v[4:5], v5
	s_delay_alu instid0(VALU_DEP_2) | instskip(NEXT) | instid1(VALU_DEP_2)
	v_cvt_f64_f32_e32 v[6:7], v6
	v_mul_f64_e32 v[4:5], s[8:9], v[4:5]
	s_delay_alu instid0(VALU_DEP_2) | instskip(NEXT) | instid1(VALU_DEP_2)
	v_mul_f64_e32 v[6:7], s[8:9], v[6:7]
	v_and_or_b32 v4, 0x1ff, v5, v4
	s_delay_alu instid0(VALU_DEP_2)
	v_and_or_b32 v6, 0x1ff, v7, v6
	v_lshrrev_b32_e32 v8, 8, v5
	v_bfe_u32 v9, v5, 20, 11
	v_lshrrev_b32_e32 v10, 8, v7
	v_cmp_ne_u32_e32 vcc_lo, 0, v4
	v_bfe_u32 v11, v7, 20, 11
	v_lshrrev_b32_e32 v5, 16, v5
	v_sub_nc_u32_e32 v12, 0x3f1, v9
	v_add_nc_u32_e32 v9, 0xfffffc10, v9
	s_wait_alu 0xfffd
	v_cndmask_b32_e64 v4, 0, 1, vcc_lo
	v_cmp_ne_u32_e32 vcc_lo, 0, v6
	v_lshrrev_b32_e32 v7, 16, v7
	s_delay_alu instid0(VALU_DEP_3) | instskip(SKIP_4) | instid1(VALU_DEP_3)
	v_and_or_b32 v4, 0xffe, v8, v4
	s_wait_alu 0xfffd
	v_cndmask_b32_e64 v6, 0, 1, vcc_lo
	v_sub_nc_u32_e32 v8, 0x3f1, v11
	v_add_nc_u32_e32 v11, 0xfffffc10, v11
	v_and_or_b32 v6, 0xffe, v10, v6
	v_med3_i32 v10, v12, 0, 13
	v_or_b32_e32 v12, 0x1000, v4
	v_med3_i32 v8, v8, 0, 13
	s_delay_alu instid0(VALU_DEP_4) | instskip(NEXT) | instid1(VALU_DEP_3)
	v_or_b32_e32 v13, 0x1000, v6
	v_lshrrev_b32_e32 v14, v10, v12
	s_delay_alu instid0(VALU_DEP_2) | instskip(NEXT) | instid1(VALU_DEP_2)
	v_lshrrev_b32_e32 v15, v8, v13
	v_lshlrev_b32_e32 v10, v10, v14
	s_delay_alu instid0(VALU_DEP_2) | instskip(NEXT) | instid1(VALU_DEP_2)
	v_lshlrev_b32_e32 v8, v8, v15
	v_cmp_ne_u32_e32 vcc_lo, v10, v12
	v_lshl_or_b32 v12, v9, 12, v4
	s_wait_alu 0xfffd
	v_cndmask_b32_e64 v10, 0, 1, vcc_lo
	v_cmp_ne_u32_e32 vcc_lo, v8, v13
	v_lshl_or_b32 v13, v11, 12, v6
	s_delay_alu instid0(VALU_DEP_3) | instskip(SKIP_3) | instid1(VALU_DEP_2)
	v_or_b32_e32 v10, v14, v10
	s_wait_alu 0xfffd
	v_cndmask_b32_e64 v8, 0, 1, vcc_lo
	v_cmp_gt_i32_e32 vcc_lo, 1, v9
	v_or_b32_e32 v8, v15, v8
	s_wait_alu 0xfffd
	v_cndmask_b32_e32 v10, v12, v10, vcc_lo
	v_cmp_gt_i32_e32 vcc_lo, 1, v11
	s_delay_alu instid0(VALU_DEP_2)
	v_and_b32_e32 v12, 7, v10
	s_wait_alu 0xfffd
	v_cndmask_b32_e32 v8, v13, v8, vcc_lo
	v_cmp_ne_u32_e32 vcc_lo, 0, v4
	v_lshrrev_b32_e32 v10, 2, v10
	v_cmp_eq_u32_e64 s0, 3, v12
	s_delay_alu instid0(VALU_DEP_4)
	v_and_b32_e32 v13, 7, v8
	s_wait_alu 0xfffd
	v_cndmask_b32_e64 v4, 0, 1, vcc_lo
	v_cmp_ne_u32_e32 vcc_lo, 0, v6
	v_lshrrev_b32_e32 v8, 2, v8
	v_cmp_lt_i32_e64 s1, 5, v13
	v_cmp_eq_u32_e64 s2, 3, v13
	s_wait_alu 0xfffd
	v_cndmask_b32_e64 v6, 0, 1, vcc_lo
	v_cmp_lt_i32_e32 vcc_lo, 5, v12
	v_lshl_or_b32 v4, v4, 9, 0x7c00
	s_delay_alu instid0(VALU_DEP_3)
	v_lshl_or_b32 v6, v6, 9, 0x7c00
	s_or_b32 vcc_lo, s0, vcc_lo
	s_wait_alu 0xfffe
	v_add_co_ci_u32_e32 v10, vcc_lo, 0, v10, vcc_lo
	s_or_b32 vcc_lo, s2, s1
	s_wait_alu 0xfffe
	v_add_co_ci_u32_e32 v8, vcc_lo, 0, v8, vcc_lo
	v_cmp_gt_i32_e32 vcc_lo, 31, v9
	s_wait_alu 0xfffd
	v_cndmask_b32_e32 v10, 0x7c00, v10, vcc_lo
	v_cmp_gt_i32_e32 vcc_lo, 31, v11
	s_wait_alu 0xfffd
	v_cndmask_b32_e32 v8, 0x7c00, v8, vcc_lo
	v_cmp_eq_u32_e32 vcc_lo, 0x40f, v9
	s_wait_alu 0xfffd
	v_cndmask_b32_e32 v4, v10, v4, vcc_lo
	v_cmp_eq_u32_e32 vcc_lo, 0x40f, v11
	s_delay_alu instid0(VALU_DEP_2)
	v_and_or_b32 v4, 0x8000, v5, v4
	s_wait_alu 0xfffd
	v_cndmask_b32_e32 v6, v8, v6, vcc_lo
	v_add_co_u32 v2, vcc_lo, v2, s6
	s_wait_alu 0xfffd
	v_add_co_ci_u32_e32 v3, vcc_lo, s7, v3, vcc_lo
	s_delay_alu instid0(VALU_DEP_3) | instskip(SKIP_1) | instid1(VALU_DEP_1)
	v_and_or_b32 v5, 0x8000, v7, v6
	v_and_b32_e32 v4, 0xffff, v4
	v_lshl_or_b32 v4, v5, 16, v4
	global_store_b32 v[2:3], v4, off
	global_load_b32 v6, v27, s[12:13] offset:648
	ds_load_2addr_b32 v[4:5], v25 offset0:162 offset1:180
	s_wait_dscnt 0x0
	v_lshrrev_b32_e32 v7, 16, v4
	s_wait_loadcnt 0x0
	v_lshrrev_b32_e32 v8, 16, v6
	s_delay_alu instid0(VALU_DEP_1) | instskip(SKIP_1) | instid1(VALU_DEP_2)
	v_mul_f16_e32 v9, v7, v8
	v_mul_f16_e32 v8, v4, v8
	v_fmac_f16_e32 v9, v4, v6
	s_delay_alu instid0(VALU_DEP_2) | instskip(NEXT) | instid1(VALU_DEP_2)
	v_fma_f16 v4, v6, v7, -v8
	v_cvt_f32_f16_e32 v6, v9
	s_delay_alu instid0(VALU_DEP_2) | instskip(NEXT) | instid1(VALU_DEP_2)
	v_cvt_f32_f16_e32 v4, v4
	v_cvt_f64_f32_e32 v[6:7], v6
	s_delay_alu instid0(VALU_DEP_2) | instskip(NEXT) | instid1(VALU_DEP_2)
	v_cvt_f64_f32_e32 v[8:9], v4
	v_mul_f64_e32 v[6:7], s[8:9], v[6:7]
	s_delay_alu instid0(VALU_DEP_2) | instskip(NEXT) | instid1(VALU_DEP_2)
	v_mul_f64_e32 v[8:9], s[8:9], v[8:9]
	v_and_or_b32 v4, 0x1ff, v7, v6
	s_delay_alu instid0(VALU_DEP_2)
	v_and_or_b32 v8, 0x1ff, v9, v8
	v_lshrrev_b32_e32 v6, 8, v7
	v_bfe_u32 v10, v7, 20, 11
	v_lshrrev_b32_e32 v11, 8, v9
	v_cmp_ne_u32_e32 vcc_lo, 0, v4
	v_bfe_u32 v12, v9, 20, 11
	v_lshrrev_b32_e32 v7, 16, v7
	v_sub_nc_u32_e32 v13, 0x3f1, v10
	v_add_nc_u32_e32 v10, 0xfffffc10, v10
	s_wait_alu 0xfffd
	v_cndmask_b32_e64 v4, 0, 1, vcc_lo
	v_cmp_ne_u32_e32 vcc_lo, 0, v8
	v_lshrrev_b32_e32 v9, 16, v9
	s_delay_alu instid0(VALU_DEP_3) | instskip(SKIP_4) | instid1(VALU_DEP_3)
	v_and_or_b32 v4, 0xffe, v6, v4
	s_wait_alu 0xfffd
	v_cndmask_b32_e64 v8, 0, 1, vcc_lo
	v_sub_nc_u32_e32 v6, 0x3f1, v12
	v_add_nc_u32_e32 v12, 0xfffffc10, v12
	v_and_or_b32 v8, 0xffe, v11, v8
	v_med3_i32 v11, v13, 0, 13
	v_or_b32_e32 v13, 0x1000, v4
	v_med3_i32 v6, v6, 0, 13
	s_delay_alu instid0(VALU_DEP_4) | instskip(NEXT) | instid1(VALU_DEP_3)
	v_or_b32_e32 v14, 0x1000, v8
	v_lshrrev_b32_e32 v15, v11, v13
	s_delay_alu instid0(VALU_DEP_2) | instskip(NEXT) | instid1(VALU_DEP_2)
	v_lshrrev_b32_e32 v16, v6, v14
	v_lshlrev_b32_e32 v11, v11, v15
	s_delay_alu instid0(VALU_DEP_2) | instskip(NEXT) | instid1(VALU_DEP_2)
	v_lshlrev_b32_e32 v6, v6, v16
	v_cmp_ne_u32_e32 vcc_lo, v11, v13
	v_lshl_or_b32 v13, v10, 12, v4
	s_wait_alu 0xfffd
	v_cndmask_b32_e64 v11, 0, 1, vcc_lo
	v_cmp_ne_u32_e32 vcc_lo, v6, v14
	v_lshl_or_b32 v14, v12, 12, v8
	s_delay_alu instid0(VALU_DEP_3) | instskip(SKIP_3) | instid1(VALU_DEP_2)
	v_or_b32_e32 v11, v15, v11
	s_wait_alu 0xfffd
	v_cndmask_b32_e64 v6, 0, 1, vcc_lo
	v_cmp_gt_i32_e32 vcc_lo, 1, v10
	v_or_b32_e32 v6, v16, v6
	s_wait_alu 0xfffd
	v_cndmask_b32_e32 v11, v13, v11, vcc_lo
	v_cmp_gt_i32_e32 vcc_lo, 1, v12
	s_wait_alu 0xfffd
	s_delay_alu instid0(VALU_DEP_2) | instskip(SKIP_2) | instid1(VALU_DEP_3)
	v_dual_cndmask_b32 v6, v14, v6 :: v_dual_and_b32 v13, 7, v11
	v_cmp_ne_u32_e32 vcc_lo, 0, v4
	v_lshrrev_b32_e32 v11, 2, v11
	v_cmp_eq_u32_e64 s0, 3, v13
	s_delay_alu instid0(VALU_DEP_4)
	v_and_b32_e32 v14, 7, v6
	s_wait_alu 0xfffd
	v_cndmask_b32_e64 v4, 0, 1, vcc_lo
	v_cmp_ne_u32_e32 vcc_lo, 0, v8
	v_lshrrev_b32_e32 v6, 2, v6
	v_cmp_lt_i32_e64 s1, 5, v14
	v_cmp_eq_u32_e64 s2, 3, v14
	s_wait_alu 0xfffd
	v_cndmask_b32_e64 v8, 0, 1, vcc_lo
	v_cmp_lt_i32_e32 vcc_lo, 5, v13
	v_lshl_or_b32 v4, v4, 9, 0x7c00
	s_delay_alu instid0(VALU_DEP_3)
	v_lshl_or_b32 v8, v8, 9, 0x7c00
	s_or_b32 vcc_lo, s0, vcc_lo
	s_wait_alu 0xfffe
	v_add_co_ci_u32_e32 v11, vcc_lo, 0, v11, vcc_lo
	s_or_b32 vcc_lo, s2, s1
	s_wait_alu 0xfffe
	v_add_co_ci_u32_e32 v6, vcc_lo, 0, v6, vcc_lo
	v_cmp_gt_i32_e32 vcc_lo, 31, v10
	s_wait_alu 0xfffd
	v_cndmask_b32_e32 v11, 0x7c00, v11, vcc_lo
	v_cmp_gt_i32_e32 vcc_lo, 31, v12
	s_wait_alu 0xfffd
	v_cndmask_b32_e32 v6, 0x7c00, v6, vcc_lo
	v_cmp_eq_u32_e32 vcc_lo, 0x40f, v10
	s_wait_alu 0xfffd
	v_cndmask_b32_e32 v4, v11, v4, vcc_lo
	v_cmp_eq_u32_e32 vcc_lo, 0x40f, v12
	s_delay_alu instid0(VALU_DEP_2)
	v_and_or_b32 v4, 0x8000, v7, v4
	s_wait_alu 0xfffd
	v_cndmask_b32_e32 v6, v6, v8, vcc_lo
	v_add_co_u32 v2, vcc_lo, v2, s6
	s_wait_alu 0xfffd
	v_add_co_ci_u32_e32 v3, vcc_lo, s7, v3, vcc_lo
	s_delay_alu instid0(VALU_DEP_3) | instskip(SKIP_1) | instid1(VALU_DEP_1)
	v_and_or_b32 v6, 0x8000, v9, v6
	v_and_b32_e32 v4, 0xffff, v4
	v_lshl_or_b32 v4, v6, 16, v4
	v_lshrrev_b32_e32 v6, 16, v5
	global_store_b32 v[2:3], v4, off
	global_load_b32 v4, v27, s[12:13] offset:720
	s_wait_loadcnt 0x0
	v_lshrrev_b32_e32 v7, 16, v4
	s_delay_alu instid0(VALU_DEP_1) | instskip(SKIP_1) | instid1(VALU_DEP_2)
	v_mul_f16_e32 v8, v6, v7
	v_mul_f16_e32 v7, v5, v7
	v_fmac_f16_e32 v8, v5, v4
	s_delay_alu instid0(VALU_DEP_2) | instskip(NEXT) | instid1(VALU_DEP_2)
	v_fma_f16 v4, v4, v6, -v7
	v_cvt_f32_f16_e32 v5, v8
	s_delay_alu instid0(VALU_DEP_2) | instskip(NEXT) | instid1(VALU_DEP_2)
	v_cvt_f32_f16_e32 v6, v4
	v_cvt_f64_f32_e32 v[4:5], v5
	s_delay_alu instid0(VALU_DEP_2) | instskip(NEXT) | instid1(VALU_DEP_2)
	v_cvt_f64_f32_e32 v[6:7], v6
	v_mul_f64_e32 v[4:5], s[8:9], v[4:5]
	s_delay_alu instid0(VALU_DEP_2) | instskip(NEXT) | instid1(VALU_DEP_2)
	v_mul_f64_e32 v[6:7], s[8:9], v[6:7]
	v_and_or_b32 v4, 0x1ff, v5, v4
	s_delay_alu instid0(VALU_DEP_2)
	v_and_or_b32 v6, 0x1ff, v7, v6
	v_lshrrev_b32_e32 v8, 8, v5
	v_bfe_u32 v9, v5, 20, 11
	v_lshrrev_b32_e32 v10, 8, v7
	v_cmp_ne_u32_e32 vcc_lo, 0, v4
	v_bfe_u32 v11, v7, 20, 11
	v_lshrrev_b32_e32 v5, 16, v5
	v_sub_nc_u32_e32 v12, 0x3f1, v9
	v_add_nc_u32_e32 v9, 0xfffffc10, v9
	s_wait_alu 0xfffd
	v_cndmask_b32_e64 v4, 0, 1, vcc_lo
	v_cmp_ne_u32_e32 vcc_lo, 0, v6
	v_lshrrev_b32_e32 v7, 16, v7
	s_delay_alu instid0(VALU_DEP_3) | instskip(SKIP_4) | instid1(VALU_DEP_3)
	v_and_or_b32 v4, 0xffe, v8, v4
	s_wait_alu 0xfffd
	v_cndmask_b32_e64 v6, 0, 1, vcc_lo
	v_sub_nc_u32_e32 v8, 0x3f1, v11
	v_add_nc_u32_e32 v11, 0xfffffc10, v11
	v_and_or_b32 v6, 0xffe, v10, v6
	v_med3_i32 v10, v12, 0, 13
	v_or_b32_e32 v12, 0x1000, v4
	v_med3_i32 v8, v8, 0, 13
	s_delay_alu instid0(VALU_DEP_4) | instskip(NEXT) | instid1(VALU_DEP_3)
	v_or_b32_e32 v13, 0x1000, v6
	v_lshrrev_b32_e32 v14, v10, v12
	s_delay_alu instid0(VALU_DEP_2) | instskip(NEXT) | instid1(VALU_DEP_2)
	v_lshrrev_b32_e32 v15, v8, v13
	v_lshlrev_b32_e32 v10, v10, v14
	s_delay_alu instid0(VALU_DEP_2) | instskip(NEXT) | instid1(VALU_DEP_2)
	v_lshlrev_b32_e32 v8, v8, v15
	v_cmp_ne_u32_e32 vcc_lo, v10, v12
	v_lshl_or_b32 v12, v9, 12, v4
	s_wait_alu 0xfffd
	v_cndmask_b32_e64 v10, 0, 1, vcc_lo
	v_cmp_ne_u32_e32 vcc_lo, v8, v13
	v_lshl_or_b32 v13, v11, 12, v6
	s_delay_alu instid0(VALU_DEP_3) | instskip(SKIP_3) | instid1(VALU_DEP_2)
	v_or_b32_e32 v10, v14, v10
	s_wait_alu 0xfffd
	v_cndmask_b32_e64 v8, 0, 1, vcc_lo
	v_cmp_gt_i32_e32 vcc_lo, 1, v9
	v_or_b32_e32 v8, v15, v8
	s_wait_alu 0xfffd
	v_cndmask_b32_e32 v10, v12, v10, vcc_lo
	v_cmp_gt_i32_e32 vcc_lo, 1, v11
	s_delay_alu instid0(VALU_DEP_2)
	v_and_b32_e32 v12, 7, v10
	s_wait_alu 0xfffd
	v_cndmask_b32_e32 v8, v13, v8, vcc_lo
	v_cmp_ne_u32_e32 vcc_lo, 0, v4
	v_lshrrev_b32_e32 v10, 2, v10
	v_cmp_eq_u32_e64 s0, 3, v12
	s_delay_alu instid0(VALU_DEP_4)
	v_and_b32_e32 v13, 7, v8
	s_wait_alu 0xfffd
	v_cndmask_b32_e64 v4, 0, 1, vcc_lo
	v_cmp_ne_u32_e32 vcc_lo, 0, v6
	v_lshrrev_b32_e32 v8, 2, v8
	v_cmp_lt_i32_e64 s1, 5, v13
	v_cmp_eq_u32_e64 s2, 3, v13
	s_wait_alu 0xfffd
	v_cndmask_b32_e64 v6, 0, 1, vcc_lo
	v_cmp_lt_i32_e32 vcc_lo, 5, v12
	v_lshl_or_b32 v4, v4, 9, 0x7c00
	s_delay_alu instid0(VALU_DEP_3)
	v_lshl_or_b32 v6, v6, 9, 0x7c00
	s_or_b32 vcc_lo, s0, vcc_lo
	s_wait_alu 0xfffe
	v_add_co_ci_u32_e32 v10, vcc_lo, 0, v10, vcc_lo
	s_or_b32 vcc_lo, s2, s1
	s_wait_alu 0xfffe
	v_add_co_ci_u32_e32 v8, vcc_lo, 0, v8, vcc_lo
	v_cmp_gt_i32_e32 vcc_lo, 31, v9
	s_wait_alu 0xfffd
	v_cndmask_b32_e32 v10, 0x7c00, v10, vcc_lo
	v_cmp_gt_i32_e32 vcc_lo, 31, v11
	s_wait_alu 0xfffd
	v_cndmask_b32_e32 v8, 0x7c00, v8, vcc_lo
	v_cmp_eq_u32_e32 vcc_lo, 0x40f, v9
	s_wait_alu 0xfffd
	v_cndmask_b32_e32 v4, v10, v4, vcc_lo
	v_cmp_eq_u32_e32 vcc_lo, 0x40f, v11
	s_delay_alu instid0(VALU_DEP_2)
	v_and_or_b32 v4, 0x8000, v5, v4
	s_wait_alu 0xfffd
	v_cndmask_b32_e32 v6, v8, v6, vcc_lo
	v_add_co_u32 v2, vcc_lo, v2, s6
	s_wait_alu 0xfffd
	v_add_co_ci_u32_e32 v3, vcc_lo, s7, v3, vcc_lo
	s_delay_alu instid0(VALU_DEP_3) | instskip(SKIP_1) | instid1(VALU_DEP_1)
	v_and_or_b32 v5, 0x8000, v7, v6
	v_and_b32_e32 v4, 0xffff, v4
	v_lshl_or_b32 v4, v5, 16, v4
	global_store_b32 v[2:3], v4, off
	global_load_b32 v6, v27, s[12:13] offset:792
	ds_load_2addr_b32 v[4:5], v25 offset0:198 offset1:216
	s_wait_dscnt 0x0
	v_lshrrev_b32_e32 v7, 16, v4
	s_wait_loadcnt 0x0
	v_lshrrev_b32_e32 v8, 16, v6
	s_delay_alu instid0(VALU_DEP_1) | instskip(SKIP_1) | instid1(VALU_DEP_2)
	v_mul_f16_e32 v9, v7, v8
	v_mul_f16_e32 v8, v4, v8
	v_fmac_f16_e32 v9, v4, v6
	s_delay_alu instid0(VALU_DEP_2) | instskip(NEXT) | instid1(VALU_DEP_2)
	v_fma_f16 v4, v6, v7, -v8
	v_cvt_f32_f16_e32 v6, v9
	s_delay_alu instid0(VALU_DEP_2) | instskip(NEXT) | instid1(VALU_DEP_2)
	v_cvt_f32_f16_e32 v4, v4
	v_cvt_f64_f32_e32 v[6:7], v6
	s_delay_alu instid0(VALU_DEP_2) | instskip(NEXT) | instid1(VALU_DEP_2)
	v_cvt_f64_f32_e32 v[8:9], v4
	v_mul_f64_e32 v[6:7], s[8:9], v[6:7]
	s_delay_alu instid0(VALU_DEP_2) | instskip(NEXT) | instid1(VALU_DEP_2)
	v_mul_f64_e32 v[8:9], s[8:9], v[8:9]
	v_and_or_b32 v4, 0x1ff, v7, v6
	s_delay_alu instid0(VALU_DEP_2)
	v_and_or_b32 v8, 0x1ff, v9, v8
	v_lshrrev_b32_e32 v6, 8, v7
	v_bfe_u32 v10, v7, 20, 11
	v_lshrrev_b32_e32 v11, 8, v9
	v_cmp_ne_u32_e32 vcc_lo, 0, v4
	v_bfe_u32 v12, v9, 20, 11
	v_lshrrev_b32_e32 v7, 16, v7
	v_sub_nc_u32_e32 v13, 0x3f1, v10
	v_add_nc_u32_e32 v10, 0xfffffc10, v10
	s_wait_alu 0xfffd
	v_cndmask_b32_e64 v4, 0, 1, vcc_lo
	v_cmp_ne_u32_e32 vcc_lo, 0, v8
	v_lshrrev_b32_e32 v9, 16, v9
	s_delay_alu instid0(VALU_DEP_3) | instskip(SKIP_4) | instid1(VALU_DEP_3)
	v_and_or_b32 v4, 0xffe, v6, v4
	s_wait_alu 0xfffd
	v_cndmask_b32_e64 v8, 0, 1, vcc_lo
	v_sub_nc_u32_e32 v6, 0x3f1, v12
	v_add_nc_u32_e32 v12, 0xfffffc10, v12
	v_and_or_b32 v8, 0xffe, v11, v8
	v_med3_i32 v11, v13, 0, 13
	v_or_b32_e32 v13, 0x1000, v4
	v_med3_i32 v6, v6, 0, 13
	s_delay_alu instid0(VALU_DEP_4) | instskip(NEXT) | instid1(VALU_DEP_3)
	v_or_b32_e32 v14, 0x1000, v8
	v_lshrrev_b32_e32 v15, v11, v13
	s_delay_alu instid0(VALU_DEP_2) | instskip(NEXT) | instid1(VALU_DEP_2)
	v_lshrrev_b32_e32 v16, v6, v14
	v_lshlrev_b32_e32 v11, v11, v15
	s_delay_alu instid0(VALU_DEP_2) | instskip(NEXT) | instid1(VALU_DEP_2)
	v_lshlrev_b32_e32 v6, v6, v16
	v_cmp_ne_u32_e32 vcc_lo, v11, v13
	v_lshl_or_b32 v13, v10, 12, v4
	s_wait_alu 0xfffd
	v_cndmask_b32_e64 v11, 0, 1, vcc_lo
	v_cmp_ne_u32_e32 vcc_lo, v6, v14
	v_lshl_or_b32 v14, v12, 12, v8
	s_delay_alu instid0(VALU_DEP_3) | instskip(SKIP_3) | instid1(VALU_DEP_2)
	v_or_b32_e32 v11, v15, v11
	s_wait_alu 0xfffd
	v_cndmask_b32_e64 v6, 0, 1, vcc_lo
	v_cmp_gt_i32_e32 vcc_lo, 1, v10
	v_or_b32_e32 v6, v16, v6
	s_wait_alu 0xfffd
	v_cndmask_b32_e32 v11, v13, v11, vcc_lo
	v_cmp_gt_i32_e32 vcc_lo, 1, v12
	s_wait_alu 0xfffd
	s_delay_alu instid0(VALU_DEP_2) | instskip(SKIP_2) | instid1(VALU_DEP_3)
	v_dual_cndmask_b32 v6, v14, v6 :: v_dual_and_b32 v13, 7, v11
	v_cmp_ne_u32_e32 vcc_lo, 0, v4
	v_lshrrev_b32_e32 v11, 2, v11
	v_cmp_eq_u32_e64 s0, 3, v13
	s_delay_alu instid0(VALU_DEP_4)
	v_and_b32_e32 v14, 7, v6
	s_wait_alu 0xfffd
	v_cndmask_b32_e64 v4, 0, 1, vcc_lo
	v_cmp_ne_u32_e32 vcc_lo, 0, v8
	v_lshrrev_b32_e32 v6, 2, v6
	v_cmp_lt_i32_e64 s1, 5, v14
	v_cmp_eq_u32_e64 s2, 3, v14
	s_wait_alu 0xfffd
	v_cndmask_b32_e64 v8, 0, 1, vcc_lo
	v_cmp_lt_i32_e32 vcc_lo, 5, v13
	v_lshl_or_b32 v4, v4, 9, 0x7c00
	s_delay_alu instid0(VALU_DEP_3)
	v_lshl_or_b32 v8, v8, 9, 0x7c00
	s_or_b32 vcc_lo, s0, vcc_lo
	s_wait_alu 0xfffe
	v_add_co_ci_u32_e32 v11, vcc_lo, 0, v11, vcc_lo
	s_or_b32 vcc_lo, s2, s1
	s_wait_alu 0xfffe
	v_add_co_ci_u32_e32 v6, vcc_lo, 0, v6, vcc_lo
	v_cmp_gt_i32_e32 vcc_lo, 31, v10
	s_wait_alu 0xfffd
	v_cndmask_b32_e32 v11, 0x7c00, v11, vcc_lo
	v_cmp_gt_i32_e32 vcc_lo, 31, v12
	s_wait_alu 0xfffd
	v_cndmask_b32_e32 v6, 0x7c00, v6, vcc_lo
	v_cmp_eq_u32_e32 vcc_lo, 0x40f, v10
	s_wait_alu 0xfffd
	v_cndmask_b32_e32 v4, v11, v4, vcc_lo
	v_cmp_eq_u32_e32 vcc_lo, 0x40f, v12
	s_delay_alu instid0(VALU_DEP_2)
	v_and_or_b32 v4, 0x8000, v7, v4
	s_wait_alu 0xfffd
	v_cndmask_b32_e32 v6, v6, v8, vcc_lo
	v_add_co_u32 v2, vcc_lo, v2, s6
	s_wait_alu 0xfffd
	v_add_co_ci_u32_e32 v3, vcc_lo, s7, v3, vcc_lo
	s_delay_alu instid0(VALU_DEP_3) | instskip(SKIP_1) | instid1(VALU_DEP_1)
	v_and_or_b32 v6, 0x8000, v9, v6
	v_and_b32_e32 v4, 0xffff, v4
	v_lshl_or_b32 v4, v6, 16, v4
	v_lshrrev_b32_e32 v6, 16, v5
	global_store_b32 v[2:3], v4, off
	global_load_b32 v4, v27, s[12:13] offset:864
	s_wait_loadcnt 0x0
	v_lshrrev_b32_e32 v7, 16, v4
	s_delay_alu instid0(VALU_DEP_1) | instskip(SKIP_1) | instid1(VALU_DEP_2)
	v_mul_f16_e32 v8, v6, v7
	v_mul_f16_e32 v7, v5, v7
	v_fmac_f16_e32 v8, v5, v4
	s_delay_alu instid0(VALU_DEP_2) | instskip(NEXT) | instid1(VALU_DEP_2)
	v_fma_f16 v4, v4, v6, -v7
	v_cvt_f32_f16_e32 v5, v8
	s_delay_alu instid0(VALU_DEP_2) | instskip(NEXT) | instid1(VALU_DEP_2)
	v_cvt_f32_f16_e32 v6, v4
	v_cvt_f64_f32_e32 v[4:5], v5
	s_delay_alu instid0(VALU_DEP_2) | instskip(NEXT) | instid1(VALU_DEP_2)
	v_cvt_f64_f32_e32 v[6:7], v6
	v_mul_f64_e32 v[4:5], s[8:9], v[4:5]
	s_delay_alu instid0(VALU_DEP_2) | instskip(NEXT) | instid1(VALU_DEP_2)
	v_mul_f64_e32 v[6:7], s[8:9], v[6:7]
	v_and_or_b32 v4, 0x1ff, v5, v4
	s_delay_alu instid0(VALU_DEP_2)
	v_and_or_b32 v6, 0x1ff, v7, v6
	v_lshrrev_b32_e32 v8, 8, v5
	v_bfe_u32 v9, v5, 20, 11
	v_lshrrev_b32_e32 v10, 8, v7
	v_cmp_ne_u32_e32 vcc_lo, 0, v4
	v_bfe_u32 v11, v7, 20, 11
	v_lshrrev_b32_e32 v5, 16, v5
	v_sub_nc_u32_e32 v12, 0x3f1, v9
	v_add_nc_u32_e32 v9, 0xfffffc10, v9
	s_wait_alu 0xfffd
	v_cndmask_b32_e64 v4, 0, 1, vcc_lo
	v_cmp_ne_u32_e32 vcc_lo, 0, v6
	v_lshrrev_b32_e32 v7, 16, v7
	s_delay_alu instid0(VALU_DEP_3) | instskip(SKIP_4) | instid1(VALU_DEP_3)
	v_and_or_b32 v4, 0xffe, v8, v4
	s_wait_alu 0xfffd
	v_cndmask_b32_e64 v6, 0, 1, vcc_lo
	v_sub_nc_u32_e32 v8, 0x3f1, v11
	v_add_nc_u32_e32 v11, 0xfffffc10, v11
	v_and_or_b32 v6, 0xffe, v10, v6
	v_med3_i32 v10, v12, 0, 13
	v_or_b32_e32 v12, 0x1000, v4
	v_med3_i32 v8, v8, 0, 13
	s_delay_alu instid0(VALU_DEP_4) | instskip(NEXT) | instid1(VALU_DEP_3)
	v_or_b32_e32 v13, 0x1000, v6
	v_lshrrev_b32_e32 v14, v10, v12
	s_delay_alu instid0(VALU_DEP_2) | instskip(NEXT) | instid1(VALU_DEP_2)
	v_lshrrev_b32_e32 v15, v8, v13
	v_lshlrev_b32_e32 v10, v10, v14
	s_delay_alu instid0(VALU_DEP_2) | instskip(NEXT) | instid1(VALU_DEP_2)
	v_lshlrev_b32_e32 v8, v8, v15
	v_cmp_ne_u32_e32 vcc_lo, v10, v12
	v_lshl_or_b32 v12, v9, 12, v4
	s_wait_alu 0xfffd
	v_cndmask_b32_e64 v10, 0, 1, vcc_lo
	v_cmp_ne_u32_e32 vcc_lo, v8, v13
	v_lshl_or_b32 v13, v11, 12, v6
	s_delay_alu instid0(VALU_DEP_3) | instskip(SKIP_3) | instid1(VALU_DEP_2)
	v_or_b32_e32 v10, v14, v10
	s_wait_alu 0xfffd
	v_cndmask_b32_e64 v8, 0, 1, vcc_lo
	v_cmp_gt_i32_e32 vcc_lo, 1, v9
	v_or_b32_e32 v8, v15, v8
	s_wait_alu 0xfffd
	v_cndmask_b32_e32 v10, v12, v10, vcc_lo
	v_cmp_gt_i32_e32 vcc_lo, 1, v11
	s_delay_alu instid0(VALU_DEP_2)
	v_and_b32_e32 v12, 7, v10
	s_wait_alu 0xfffd
	v_cndmask_b32_e32 v8, v13, v8, vcc_lo
	v_cmp_ne_u32_e32 vcc_lo, 0, v4
	v_lshrrev_b32_e32 v10, 2, v10
	v_cmp_eq_u32_e64 s0, 3, v12
	s_delay_alu instid0(VALU_DEP_4)
	v_and_b32_e32 v13, 7, v8
	s_wait_alu 0xfffd
	v_cndmask_b32_e64 v4, 0, 1, vcc_lo
	v_cmp_ne_u32_e32 vcc_lo, 0, v6
	v_lshrrev_b32_e32 v8, 2, v8
	v_cmp_lt_i32_e64 s1, 5, v13
	v_cmp_eq_u32_e64 s2, 3, v13
	s_wait_alu 0xfffd
	v_cndmask_b32_e64 v6, 0, 1, vcc_lo
	v_cmp_lt_i32_e32 vcc_lo, 5, v12
	v_lshl_or_b32 v4, v4, 9, 0x7c00
	s_delay_alu instid0(VALU_DEP_3)
	v_lshl_or_b32 v6, v6, 9, 0x7c00
	s_or_b32 vcc_lo, s0, vcc_lo
	s_wait_alu 0xfffe
	v_add_co_ci_u32_e32 v10, vcc_lo, 0, v10, vcc_lo
	s_or_b32 vcc_lo, s2, s1
	s_wait_alu 0xfffe
	v_add_co_ci_u32_e32 v8, vcc_lo, 0, v8, vcc_lo
	v_cmp_gt_i32_e32 vcc_lo, 31, v9
	s_wait_alu 0xfffd
	v_cndmask_b32_e32 v10, 0x7c00, v10, vcc_lo
	v_cmp_gt_i32_e32 vcc_lo, 31, v11
	s_wait_alu 0xfffd
	v_cndmask_b32_e32 v8, 0x7c00, v8, vcc_lo
	v_cmp_eq_u32_e32 vcc_lo, 0x40f, v9
	s_wait_alu 0xfffd
	v_cndmask_b32_e32 v4, v10, v4, vcc_lo
	v_cmp_eq_u32_e32 vcc_lo, 0x40f, v11
	s_delay_alu instid0(VALU_DEP_2)
	v_and_or_b32 v4, 0x8000, v5, v4
	s_wait_alu 0xfffd
	v_cndmask_b32_e32 v6, v8, v6, vcc_lo
	v_add_co_u32 v2, vcc_lo, v2, s6
	s_wait_alu 0xfffd
	v_add_co_ci_u32_e32 v3, vcc_lo, s7, v3, vcc_lo
	s_delay_alu instid0(VALU_DEP_3) | instskip(SKIP_1) | instid1(VALU_DEP_1)
	v_and_or_b32 v5, 0x8000, v7, v6
	v_and_b32_e32 v4, 0xffff, v4
	v_lshl_or_b32 v4, v5, 16, v4
	global_store_b32 v[2:3], v4, off
	global_load_b32 v6, v27, s[12:13] offset:936
	ds_load_2addr_b32 v[4:5], v25 offset0:234 offset1:252
	s_wait_dscnt 0x0
	v_lshrrev_b32_e32 v7, 16, v4
	s_wait_loadcnt 0x0
	v_lshrrev_b32_e32 v8, 16, v6
	s_delay_alu instid0(VALU_DEP_1) | instskip(SKIP_1) | instid1(VALU_DEP_2)
	v_mul_f16_e32 v9, v7, v8
	v_mul_f16_e32 v8, v4, v8
	v_fmac_f16_e32 v9, v4, v6
	s_delay_alu instid0(VALU_DEP_2) | instskip(NEXT) | instid1(VALU_DEP_2)
	v_fma_f16 v4, v6, v7, -v8
	v_cvt_f32_f16_e32 v6, v9
	s_delay_alu instid0(VALU_DEP_2) | instskip(NEXT) | instid1(VALU_DEP_2)
	v_cvt_f32_f16_e32 v4, v4
	v_cvt_f64_f32_e32 v[6:7], v6
	s_delay_alu instid0(VALU_DEP_2) | instskip(NEXT) | instid1(VALU_DEP_2)
	v_cvt_f64_f32_e32 v[8:9], v4
	v_mul_f64_e32 v[6:7], s[8:9], v[6:7]
	s_delay_alu instid0(VALU_DEP_2) | instskip(NEXT) | instid1(VALU_DEP_2)
	v_mul_f64_e32 v[8:9], s[8:9], v[8:9]
	v_and_or_b32 v4, 0x1ff, v7, v6
	s_delay_alu instid0(VALU_DEP_2)
	v_and_or_b32 v8, 0x1ff, v9, v8
	v_lshrrev_b32_e32 v6, 8, v7
	v_bfe_u32 v10, v7, 20, 11
	v_lshrrev_b32_e32 v11, 8, v9
	v_cmp_ne_u32_e32 vcc_lo, 0, v4
	v_bfe_u32 v12, v9, 20, 11
	v_lshrrev_b32_e32 v7, 16, v7
	v_sub_nc_u32_e32 v13, 0x3f1, v10
	v_add_nc_u32_e32 v10, 0xfffffc10, v10
	s_wait_alu 0xfffd
	v_cndmask_b32_e64 v4, 0, 1, vcc_lo
	v_cmp_ne_u32_e32 vcc_lo, 0, v8
	v_lshrrev_b32_e32 v9, 16, v9
	s_delay_alu instid0(VALU_DEP_3) | instskip(SKIP_4) | instid1(VALU_DEP_3)
	v_and_or_b32 v4, 0xffe, v6, v4
	s_wait_alu 0xfffd
	v_cndmask_b32_e64 v8, 0, 1, vcc_lo
	v_sub_nc_u32_e32 v6, 0x3f1, v12
	v_add_nc_u32_e32 v12, 0xfffffc10, v12
	v_and_or_b32 v8, 0xffe, v11, v8
	v_med3_i32 v11, v13, 0, 13
	v_or_b32_e32 v13, 0x1000, v4
	v_med3_i32 v6, v6, 0, 13
	s_delay_alu instid0(VALU_DEP_4) | instskip(NEXT) | instid1(VALU_DEP_3)
	v_or_b32_e32 v14, 0x1000, v8
	v_lshrrev_b32_e32 v15, v11, v13
	s_delay_alu instid0(VALU_DEP_2) | instskip(NEXT) | instid1(VALU_DEP_2)
	v_lshrrev_b32_e32 v16, v6, v14
	v_lshlrev_b32_e32 v11, v11, v15
	s_delay_alu instid0(VALU_DEP_2) | instskip(NEXT) | instid1(VALU_DEP_2)
	v_lshlrev_b32_e32 v6, v6, v16
	v_cmp_ne_u32_e32 vcc_lo, v11, v13
	v_lshl_or_b32 v13, v10, 12, v4
	s_wait_alu 0xfffd
	v_cndmask_b32_e64 v11, 0, 1, vcc_lo
	v_cmp_ne_u32_e32 vcc_lo, v6, v14
	v_lshl_or_b32 v14, v12, 12, v8
	s_delay_alu instid0(VALU_DEP_3) | instskip(SKIP_3) | instid1(VALU_DEP_2)
	v_or_b32_e32 v11, v15, v11
	s_wait_alu 0xfffd
	v_cndmask_b32_e64 v6, 0, 1, vcc_lo
	v_cmp_gt_i32_e32 vcc_lo, 1, v10
	v_or_b32_e32 v6, v16, v6
	s_wait_alu 0xfffd
	v_cndmask_b32_e32 v11, v13, v11, vcc_lo
	v_cmp_gt_i32_e32 vcc_lo, 1, v12
	s_wait_alu 0xfffd
	s_delay_alu instid0(VALU_DEP_2) | instskip(SKIP_2) | instid1(VALU_DEP_3)
	v_dual_cndmask_b32 v6, v14, v6 :: v_dual_and_b32 v13, 7, v11
	v_cmp_ne_u32_e32 vcc_lo, 0, v4
	v_lshrrev_b32_e32 v11, 2, v11
	v_cmp_eq_u32_e64 s0, 3, v13
	s_delay_alu instid0(VALU_DEP_4)
	v_and_b32_e32 v14, 7, v6
	s_wait_alu 0xfffd
	v_cndmask_b32_e64 v4, 0, 1, vcc_lo
	v_cmp_ne_u32_e32 vcc_lo, 0, v8
	v_lshrrev_b32_e32 v6, 2, v6
	v_cmp_lt_i32_e64 s1, 5, v14
	v_cmp_eq_u32_e64 s2, 3, v14
	s_wait_alu 0xfffd
	v_cndmask_b32_e64 v8, 0, 1, vcc_lo
	v_cmp_lt_i32_e32 vcc_lo, 5, v13
	v_lshl_or_b32 v4, v4, 9, 0x7c00
	s_delay_alu instid0(VALU_DEP_3)
	v_lshl_or_b32 v8, v8, 9, 0x7c00
	s_or_b32 vcc_lo, s0, vcc_lo
	s_wait_alu 0xfffe
	v_add_co_ci_u32_e32 v11, vcc_lo, 0, v11, vcc_lo
	s_or_b32 vcc_lo, s2, s1
	s_wait_alu 0xfffe
	v_add_co_ci_u32_e32 v6, vcc_lo, 0, v6, vcc_lo
	v_cmp_gt_i32_e32 vcc_lo, 31, v10
	s_wait_alu 0xfffd
	v_cndmask_b32_e32 v11, 0x7c00, v11, vcc_lo
	v_cmp_gt_i32_e32 vcc_lo, 31, v12
	s_wait_alu 0xfffd
	v_cndmask_b32_e32 v6, 0x7c00, v6, vcc_lo
	v_cmp_eq_u32_e32 vcc_lo, 0x40f, v10
	s_wait_alu 0xfffd
	v_cndmask_b32_e32 v4, v11, v4, vcc_lo
	v_cmp_eq_u32_e32 vcc_lo, 0x40f, v12
	s_delay_alu instid0(VALU_DEP_2)
	v_and_or_b32 v4, 0x8000, v7, v4
	s_wait_alu 0xfffd
	v_cndmask_b32_e32 v6, v6, v8, vcc_lo
	v_add_co_u32 v2, vcc_lo, v2, s6
	s_wait_alu 0xfffd
	v_add_co_ci_u32_e32 v3, vcc_lo, s7, v3, vcc_lo
	s_delay_alu instid0(VALU_DEP_3) | instskip(SKIP_1) | instid1(VALU_DEP_1)
	v_and_or_b32 v6, 0x8000, v9, v6
	v_and_b32_e32 v4, 0xffff, v4
	v_lshl_or_b32 v4, v6, 16, v4
	v_lshrrev_b32_e32 v6, 16, v5
	global_store_b32 v[2:3], v4, off
	global_load_b32 v4, v27, s[12:13] offset:1008
	s_wait_loadcnt 0x0
	v_lshrrev_b32_e32 v7, 16, v4
	s_delay_alu instid0(VALU_DEP_1) | instskip(SKIP_1) | instid1(VALU_DEP_2)
	v_mul_f16_e32 v8, v6, v7
	v_mul_f16_e32 v7, v5, v7
	v_fmac_f16_e32 v8, v5, v4
	s_delay_alu instid0(VALU_DEP_2) | instskip(NEXT) | instid1(VALU_DEP_2)
	v_fma_f16 v4, v4, v6, -v7
	v_cvt_f32_f16_e32 v5, v8
	s_delay_alu instid0(VALU_DEP_2) | instskip(NEXT) | instid1(VALU_DEP_2)
	v_cvt_f32_f16_e32 v6, v4
	v_cvt_f64_f32_e32 v[4:5], v5
	s_delay_alu instid0(VALU_DEP_2) | instskip(NEXT) | instid1(VALU_DEP_2)
	v_cvt_f64_f32_e32 v[6:7], v6
	v_mul_f64_e32 v[4:5], s[8:9], v[4:5]
	s_delay_alu instid0(VALU_DEP_2) | instskip(NEXT) | instid1(VALU_DEP_2)
	v_mul_f64_e32 v[6:7], s[8:9], v[6:7]
	v_and_or_b32 v4, 0x1ff, v5, v4
	s_delay_alu instid0(VALU_DEP_2)
	v_and_or_b32 v6, 0x1ff, v7, v6
	v_lshrrev_b32_e32 v8, 8, v5
	v_bfe_u32 v9, v5, 20, 11
	v_lshrrev_b32_e32 v10, 8, v7
	v_cmp_ne_u32_e32 vcc_lo, 0, v4
	v_bfe_u32 v11, v7, 20, 11
	v_lshrrev_b32_e32 v5, 16, v5
	v_sub_nc_u32_e32 v12, 0x3f1, v9
	v_add_nc_u32_e32 v9, 0xfffffc10, v9
	s_wait_alu 0xfffd
	v_cndmask_b32_e64 v4, 0, 1, vcc_lo
	v_cmp_ne_u32_e32 vcc_lo, 0, v6
	v_lshrrev_b32_e32 v7, 16, v7
	s_delay_alu instid0(VALU_DEP_3) | instskip(SKIP_4) | instid1(VALU_DEP_3)
	v_and_or_b32 v4, 0xffe, v8, v4
	s_wait_alu 0xfffd
	v_cndmask_b32_e64 v6, 0, 1, vcc_lo
	v_sub_nc_u32_e32 v8, 0x3f1, v11
	v_add_nc_u32_e32 v11, 0xfffffc10, v11
	v_and_or_b32 v6, 0xffe, v10, v6
	v_med3_i32 v10, v12, 0, 13
	v_or_b32_e32 v12, 0x1000, v4
	v_med3_i32 v8, v8, 0, 13
	s_delay_alu instid0(VALU_DEP_4) | instskip(NEXT) | instid1(VALU_DEP_3)
	v_or_b32_e32 v13, 0x1000, v6
	v_lshrrev_b32_e32 v14, v10, v12
	s_delay_alu instid0(VALU_DEP_2) | instskip(NEXT) | instid1(VALU_DEP_2)
	v_lshrrev_b32_e32 v15, v8, v13
	v_lshlrev_b32_e32 v10, v10, v14
	s_delay_alu instid0(VALU_DEP_2) | instskip(NEXT) | instid1(VALU_DEP_2)
	v_lshlrev_b32_e32 v8, v8, v15
	v_cmp_ne_u32_e32 vcc_lo, v10, v12
	v_lshl_or_b32 v12, v9, 12, v4
	s_wait_alu 0xfffd
	v_cndmask_b32_e64 v10, 0, 1, vcc_lo
	v_cmp_ne_u32_e32 vcc_lo, v8, v13
	v_lshl_or_b32 v13, v11, 12, v6
	s_delay_alu instid0(VALU_DEP_3) | instskip(SKIP_3) | instid1(VALU_DEP_2)
	v_or_b32_e32 v10, v14, v10
	s_wait_alu 0xfffd
	v_cndmask_b32_e64 v8, 0, 1, vcc_lo
	v_cmp_gt_i32_e32 vcc_lo, 1, v9
	v_or_b32_e32 v8, v15, v8
	s_wait_alu 0xfffd
	v_cndmask_b32_e32 v10, v12, v10, vcc_lo
	v_cmp_gt_i32_e32 vcc_lo, 1, v11
	s_delay_alu instid0(VALU_DEP_2)
	v_and_b32_e32 v12, 7, v10
	s_wait_alu 0xfffd
	v_cndmask_b32_e32 v8, v13, v8, vcc_lo
	v_cmp_ne_u32_e32 vcc_lo, 0, v4
	v_lshrrev_b32_e32 v10, 2, v10
	v_cmp_eq_u32_e64 s0, 3, v12
	s_delay_alu instid0(VALU_DEP_4)
	v_and_b32_e32 v13, 7, v8
	s_wait_alu 0xfffd
	v_cndmask_b32_e64 v4, 0, 1, vcc_lo
	v_cmp_ne_u32_e32 vcc_lo, 0, v6
	v_lshrrev_b32_e32 v8, 2, v8
	v_cmp_lt_i32_e64 s1, 5, v13
	v_cmp_eq_u32_e64 s2, 3, v13
	s_wait_alu 0xfffd
	v_cndmask_b32_e64 v6, 0, 1, vcc_lo
	v_cmp_lt_i32_e32 vcc_lo, 5, v12
	v_lshl_or_b32 v4, v4, 9, 0x7c00
	s_delay_alu instid0(VALU_DEP_3)
	v_lshl_or_b32 v6, v6, 9, 0x7c00
	s_or_b32 vcc_lo, s0, vcc_lo
	s_wait_alu 0xfffe
	v_add_co_ci_u32_e32 v10, vcc_lo, 0, v10, vcc_lo
	s_or_b32 vcc_lo, s2, s1
	s_wait_alu 0xfffe
	v_add_co_ci_u32_e32 v8, vcc_lo, 0, v8, vcc_lo
	v_cmp_gt_i32_e32 vcc_lo, 31, v9
	s_wait_alu 0xfffd
	v_cndmask_b32_e32 v10, 0x7c00, v10, vcc_lo
	v_cmp_gt_i32_e32 vcc_lo, 31, v11
	s_wait_alu 0xfffd
	v_cndmask_b32_e32 v8, 0x7c00, v8, vcc_lo
	v_cmp_eq_u32_e32 vcc_lo, 0x40f, v9
	s_wait_alu 0xfffd
	v_cndmask_b32_e32 v4, v10, v4, vcc_lo
	v_cmp_eq_u32_e32 vcc_lo, 0x40f, v11
	s_delay_alu instid0(VALU_DEP_2)
	v_and_or_b32 v4, 0x8000, v5, v4
	s_wait_alu 0xfffd
	v_cndmask_b32_e32 v6, v8, v6, vcc_lo
	v_add_co_u32 v2, vcc_lo, v2, s6
	s_wait_alu 0xfffd
	v_add_co_ci_u32_e32 v3, vcc_lo, s7, v3, vcc_lo
	s_delay_alu instid0(VALU_DEP_3) | instskip(SKIP_1) | instid1(VALU_DEP_1)
	v_and_or_b32 v5, 0x8000, v7, v6
	v_and_b32_e32 v4, 0xffff, v4
	v_lshl_or_b32 v4, v5, 16, v4
	global_store_b32 v[2:3], v4, off
	global_load_b32 v6, v27, s[12:13] offset:1080
	v_add_nc_u32_e32 v4, 0x400, v25
	ds_load_2addr_b32 v[4:5], v4 offset0:14 offset1:32
	s_wait_dscnt 0x0
	v_lshrrev_b32_e32 v7, 16, v4
	s_wait_loadcnt 0x0
	v_lshrrev_b32_e32 v8, 16, v6
	s_delay_alu instid0(VALU_DEP_1) | instskip(SKIP_1) | instid1(VALU_DEP_2)
	v_mul_f16_e32 v9, v7, v8
	v_mul_f16_e32 v8, v4, v8
	v_fmac_f16_e32 v9, v4, v6
	s_delay_alu instid0(VALU_DEP_2) | instskip(NEXT) | instid1(VALU_DEP_2)
	v_fma_f16 v4, v6, v7, -v8
	v_cvt_f32_f16_e32 v6, v9
	s_delay_alu instid0(VALU_DEP_2) | instskip(NEXT) | instid1(VALU_DEP_2)
	v_cvt_f32_f16_e32 v4, v4
	v_cvt_f64_f32_e32 v[6:7], v6
	s_delay_alu instid0(VALU_DEP_2) | instskip(NEXT) | instid1(VALU_DEP_2)
	v_cvt_f64_f32_e32 v[8:9], v4
	v_mul_f64_e32 v[6:7], s[8:9], v[6:7]
	s_delay_alu instid0(VALU_DEP_2) | instskip(NEXT) | instid1(VALU_DEP_2)
	v_mul_f64_e32 v[8:9], s[8:9], v[8:9]
	v_and_or_b32 v4, 0x1ff, v7, v6
	s_delay_alu instid0(VALU_DEP_2)
	v_and_or_b32 v8, 0x1ff, v9, v8
	v_lshrrev_b32_e32 v6, 8, v7
	v_bfe_u32 v10, v7, 20, 11
	v_lshrrev_b32_e32 v11, 8, v9
	v_cmp_ne_u32_e32 vcc_lo, 0, v4
	v_bfe_u32 v12, v9, 20, 11
	v_lshrrev_b32_e32 v7, 16, v7
	v_sub_nc_u32_e32 v13, 0x3f1, v10
	v_add_nc_u32_e32 v10, 0xfffffc10, v10
	s_wait_alu 0xfffd
	v_cndmask_b32_e64 v4, 0, 1, vcc_lo
	v_cmp_ne_u32_e32 vcc_lo, 0, v8
	v_lshrrev_b32_e32 v9, 16, v9
	s_delay_alu instid0(VALU_DEP_3) | instskip(SKIP_4) | instid1(VALU_DEP_3)
	v_and_or_b32 v4, 0xffe, v6, v4
	s_wait_alu 0xfffd
	v_cndmask_b32_e64 v8, 0, 1, vcc_lo
	v_sub_nc_u32_e32 v6, 0x3f1, v12
	v_add_nc_u32_e32 v12, 0xfffffc10, v12
	v_and_or_b32 v8, 0xffe, v11, v8
	v_med3_i32 v11, v13, 0, 13
	v_or_b32_e32 v13, 0x1000, v4
	v_med3_i32 v6, v6, 0, 13
	s_delay_alu instid0(VALU_DEP_4) | instskip(NEXT) | instid1(VALU_DEP_3)
	v_or_b32_e32 v14, 0x1000, v8
	v_lshrrev_b32_e32 v15, v11, v13
	s_delay_alu instid0(VALU_DEP_2) | instskip(NEXT) | instid1(VALU_DEP_2)
	v_lshrrev_b32_e32 v16, v6, v14
	v_lshlrev_b32_e32 v11, v11, v15
	s_delay_alu instid0(VALU_DEP_2) | instskip(NEXT) | instid1(VALU_DEP_2)
	v_lshlrev_b32_e32 v6, v6, v16
	v_cmp_ne_u32_e32 vcc_lo, v11, v13
	v_lshl_or_b32 v13, v10, 12, v4
	s_wait_alu 0xfffd
	v_cndmask_b32_e64 v11, 0, 1, vcc_lo
	v_cmp_ne_u32_e32 vcc_lo, v6, v14
	v_lshl_or_b32 v14, v12, 12, v8
	s_delay_alu instid0(VALU_DEP_3) | instskip(SKIP_3) | instid1(VALU_DEP_2)
	v_or_b32_e32 v11, v15, v11
	s_wait_alu 0xfffd
	v_cndmask_b32_e64 v6, 0, 1, vcc_lo
	v_cmp_gt_i32_e32 vcc_lo, 1, v10
	v_or_b32_e32 v6, v16, v6
	s_wait_alu 0xfffd
	v_cndmask_b32_e32 v11, v13, v11, vcc_lo
	v_cmp_gt_i32_e32 vcc_lo, 1, v12
	s_wait_alu 0xfffd
	s_delay_alu instid0(VALU_DEP_2) | instskip(SKIP_2) | instid1(VALU_DEP_3)
	v_dual_cndmask_b32 v6, v14, v6 :: v_dual_and_b32 v13, 7, v11
	v_cmp_ne_u32_e32 vcc_lo, 0, v4
	v_lshrrev_b32_e32 v11, 2, v11
	v_cmp_eq_u32_e64 s0, 3, v13
	s_delay_alu instid0(VALU_DEP_4)
	v_and_b32_e32 v14, 7, v6
	s_wait_alu 0xfffd
	v_cndmask_b32_e64 v4, 0, 1, vcc_lo
	v_cmp_ne_u32_e32 vcc_lo, 0, v8
	v_lshrrev_b32_e32 v6, 2, v6
	v_cmp_lt_i32_e64 s1, 5, v14
	v_cmp_eq_u32_e64 s2, 3, v14
	s_wait_alu 0xfffd
	v_cndmask_b32_e64 v8, 0, 1, vcc_lo
	v_cmp_lt_i32_e32 vcc_lo, 5, v13
	v_lshl_or_b32 v4, v4, 9, 0x7c00
	s_delay_alu instid0(VALU_DEP_3)
	v_lshl_or_b32 v8, v8, 9, 0x7c00
	s_or_b32 vcc_lo, s0, vcc_lo
	s_wait_alu 0xfffe
	v_add_co_ci_u32_e32 v11, vcc_lo, 0, v11, vcc_lo
	s_or_b32 vcc_lo, s2, s1
	s_wait_alu 0xfffe
	v_add_co_ci_u32_e32 v6, vcc_lo, 0, v6, vcc_lo
	v_cmp_gt_i32_e32 vcc_lo, 31, v10
	s_wait_alu 0xfffd
	v_cndmask_b32_e32 v11, 0x7c00, v11, vcc_lo
	v_cmp_gt_i32_e32 vcc_lo, 31, v12
	s_wait_alu 0xfffd
	v_cndmask_b32_e32 v6, 0x7c00, v6, vcc_lo
	v_cmp_eq_u32_e32 vcc_lo, 0x40f, v10
	s_wait_alu 0xfffd
	v_cndmask_b32_e32 v4, v11, v4, vcc_lo
	v_cmp_eq_u32_e32 vcc_lo, 0x40f, v12
	s_delay_alu instid0(VALU_DEP_2)
	v_and_or_b32 v4, 0x8000, v7, v4
	s_wait_alu 0xfffd
	v_cndmask_b32_e32 v6, v6, v8, vcc_lo
	v_add_co_u32 v2, vcc_lo, v2, s6
	s_wait_alu 0xfffd
	v_add_co_ci_u32_e32 v3, vcc_lo, s7, v3, vcc_lo
	s_delay_alu instid0(VALU_DEP_3) | instskip(SKIP_1) | instid1(VALU_DEP_1)
	v_and_or_b32 v6, 0x8000, v9, v6
	v_and_b32_e32 v4, 0xffff, v4
	v_lshl_or_b32 v4, v6, 16, v4
	global_store_b32 v[2:3], v4, off
	global_load_b32 v2, v27, s[12:13] offset:1152
	v_lshrrev_b32_e32 v3, 16, v5
	s_wait_loadcnt 0x0
	v_lshrrev_b32_e32 v4, 16, v2
	s_delay_alu instid0(VALU_DEP_1) | instskip(SKIP_1) | instid1(VALU_DEP_2)
	v_mul_f16_e32 v6, v3, v4
	v_mul_f16_e32 v4, v5, v4
	v_fmac_f16_e32 v6, v5, v2
	s_delay_alu instid0(VALU_DEP_2) | instskip(NEXT) | instid1(VALU_DEP_2)
	v_fma_f16 v2, v2, v3, -v4
	v_cvt_f32_f16_e32 v3, v6
	s_delay_alu instid0(VALU_DEP_2) | instskip(NEXT) | instid1(VALU_DEP_2)
	v_cvt_f32_f16_e32 v4, v2
	v_cvt_f64_f32_e32 v[2:3], v3
	s_delay_alu instid0(VALU_DEP_2) | instskip(NEXT) | instid1(VALU_DEP_2)
	v_cvt_f64_f32_e32 v[4:5], v4
	v_mul_f64_e32 v[2:3], s[8:9], v[2:3]
	s_delay_alu instid0(VALU_DEP_2) | instskip(NEXT) | instid1(VALU_DEP_2)
	v_mul_f64_e32 v[4:5], s[8:9], v[4:5]
	v_and_or_b32 v2, 0x1ff, v3, v2
	s_delay_alu instid0(VALU_DEP_2)
	v_and_or_b32 v4, 0x1ff, v5, v4
	v_lshrrev_b32_e32 v6, 8, v3
	v_bfe_u32 v8, v3, 20, 11
	v_bfe_u32 v9, v5, 20, 11
	v_cmp_ne_u32_e32 vcc_lo, 0, v2
	v_lshrrev_b32_e32 v7, 8, v5
	v_lshrrev_b32_e32 v5, 16, v5
	v_sub_nc_u32_e32 v10, 0x3f1, v8
	v_sub_nc_u32_e32 v11, 0x3f1, v9
	s_wait_alu 0xfffd
	v_cndmask_b32_e64 v2, 0, 1, vcc_lo
	v_cmp_ne_u32_e32 vcc_lo, 0, v4
	v_add_nc_u32_e32 v9, 0xfffffc10, v9
	s_delay_alu instid0(VALU_DEP_3)
	v_and_or_b32 v12, 0xffe, v6, v2
	s_wait_alu 0xfffd
	v_cndmask_b32_e64 v4, 0, 1, vcc_lo
	v_med3_i32 v2, v10, 0, 13
	v_med3_i32 v10, v11, 0, 13
	v_or_b32_e32 v11, 0x1000, v12
	s_delay_alu instid0(VALU_DEP_4) | instskip(SKIP_1) | instid1(VALU_DEP_3)
	v_and_or_b32 v4, 0xffe, v7, v4
	v_mad_co_u64_u32 v[6:7], null, s4, v26, 0
	v_lshrrev_b32_e32 v14, v2, v11
	s_delay_alu instid0(VALU_DEP_3) | instskip(NEXT) | instid1(VALU_DEP_2)
	v_or_b32_e32 v13, 0x1000, v4
	v_lshlrev_b32_e32 v16, v2, v14
	s_delay_alu instid0(VALU_DEP_2) | instskip(SKIP_1) | instid1(VALU_DEP_3)
	v_lshrrev_b32_e32 v15, v10, v13
	v_mov_b32_e32 v2, v7
	v_cmp_ne_u32_e32 vcc_lo, v16, v11
	s_delay_alu instid0(VALU_DEP_3) | instskip(SKIP_3) | instid1(VALU_DEP_3)
	v_lshlrev_b32_e32 v7, v10, v15
	v_add_nc_u32_e32 v10, 0xfffffc10, v8
	s_wait_alu 0xfffd
	v_cndmask_b32_e64 v11, 0, 1, vcc_lo
	v_cmp_ne_u32_e32 vcc_lo, v7, v13
	v_mad_co_u64_u32 v[7:8], null, s5, v26, v[2:3]
	v_lshl_or_b32 v2, v10, 12, v12
	s_delay_alu instid0(VALU_DEP_4)
	v_or_b32_e32 v8, v14, v11
	s_wait_alu 0xfffd
	v_cndmask_b32_e64 v13, 0, 1, vcc_lo
	v_cmp_gt_i32_e32 vcc_lo, 1, v10
	v_lshl_or_b32 v11, v9, 12, v4
	v_lshrrev_b32_e32 v3, 16, v3
	s_delay_alu instid0(VALU_DEP_4)
	v_or_b32_e32 v13, v15, v13
	s_wait_alu 0xfffd
	v_cndmask_b32_e32 v2, v2, v8, vcc_lo
	v_cmp_gt_i32_e32 vcc_lo, 1, v9
	s_wait_alu 0xfffd
	v_cndmask_b32_e32 v8, v11, v13, vcc_lo
	v_cmp_ne_u32_e32 vcc_lo, 0, v12
	v_and_b32_e32 v12, 7, v2
	v_lshrrev_b32_e32 v2, 2, v2
	s_delay_alu instid0(VALU_DEP_4)
	v_and_b32_e32 v13, 7, v8
	s_wait_alu 0xfffd
	v_cndmask_b32_e64 v11, 0, 1, vcc_lo
	v_cmp_ne_u32_e32 vcc_lo, 0, v4
	v_cmp_eq_u32_e64 s0, 3, v12
	v_lshrrev_b32_e32 v8, 2, v8
	v_cmp_lt_i32_e64 s1, 5, v13
	v_cmp_eq_u32_e64 s2, 3, v13
	s_wait_alu 0xfffd
	v_cndmask_b32_e64 v4, 0, 1, vcc_lo
	v_cmp_lt_i32_e32 vcc_lo, 5, v12
	v_lshl_or_b32 v11, v11, 9, 0x7c00
	s_delay_alu instid0(VALU_DEP_3)
	v_lshl_or_b32 v4, v4, 9, 0x7c00
	s_or_b32 vcc_lo, s0, vcc_lo
	s_wait_alu 0xfffe
	v_add_co_ci_u32_e32 v2, vcc_lo, 0, v2, vcc_lo
	s_or_b32 vcc_lo, s2, s1
	s_wait_alu 0xfffe
	v_add_co_ci_u32_e32 v8, vcc_lo, 0, v8, vcc_lo
	v_cmp_gt_i32_e32 vcc_lo, 31, v10
	s_wait_alu 0xfffd
	v_cndmask_b32_e32 v2, 0x7c00, v2, vcc_lo
	v_cmp_gt_i32_e32 vcc_lo, 31, v9
	s_wait_alu 0xfffd
	v_cndmask_b32_e32 v8, 0x7c00, v8, vcc_lo
	v_cmp_eq_u32_e32 vcc_lo, 0x40f, v10
	s_wait_alu 0xfffd
	v_cndmask_b32_e32 v2, v2, v11, vcc_lo
	v_cmp_eq_u32_e32 vcc_lo, 0x40f, v9
	s_delay_alu instid0(VALU_DEP_2) | instskip(SKIP_2) | instid1(VALU_DEP_1)
	v_and_or_b32 v2, 0x8000, v3, v2
	s_wait_alu 0xfffd
	v_cndmask_b32_e32 v4, v8, v4, vcc_lo
	v_and_or_b32 v4, 0x8000, v5, v4
	s_delay_alu instid0(VALU_DEP_3) | instskip(SKIP_1) | instid1(VALU_DEP_2)
	v_and_b32_e32 v5, 0xffff, v2
	v_lshlrev_b64_e32 v[2:3], 2, v[6:7]
	v_lshl_or_b32 v4, v4, 16, v5
	s_delay_alu instid0(VALU_DEP_2) | instskip(SKIP_1) | instid1(VALU_DEP_3)
	v_add_co_u32 v0, vcc_lo, v0, v2
	s_wait_alu 0xfffd
	v_add_co_ci_u32_e32 v1, vcc_lo, v1, v3, vcc_lo
	global_store_b32 v[0:1], v4, off
.LBB0_23:
	s_nop 0
	s_sendmsg sendmsg(MSG_DEALLOC_VGPRS)
	s_endpgm
	.section	.rodata,"a",@progbits
	.p2align	6, 0x0
	.amdhsa_kernel bluestein_single_back_len306_dim1_half_op_CI_CI
		.amdhsa_group_segment_fixed_size 8568
		.amdhsa_private_segment_fixed_size 0
		.amdhsa_kernarg_size 104
		.amdhsa_user_sgpr_count 2
		.amdhsa_user_sgpr_dispatch_ptr 0
		.amdhsa_user_sgpr_queue_ptr 0
		.amdhsa_user_sgpr_kernarg_segment_ptr 1
		.amdhsa_user_sgpr_dispatch_id 0
		.amdhsa_user_sgpr_private_segment_size 0
		.amdhsa_wavefront_size32 1
		.amdhsa_uses_dynamic_stack 0
		.amdhsa_enable_private_segment 0
		.amdhsa_system_sgpr_workgroup_id_x 1
		.amdhsa_system_sgpr_workgroup_id_y 0
		.amdhsa_system_sgpr_workgroup_id_z 0
		.amdhsa_system_sgpr_workgroup_info 0
		.amdhsa_system_vgpr_workitem_id 0
		.amdhsa_next_free_vgpr 222
		.amdhsa_next_free_sgpr 16
		.amdhsa_reserve_vcc 1
		.amdhsa_float_round_mode_32 0
		.amdhsa_float_round_mode_16_64 0
		.amdhsa_float_denorm_mode_32 3
		.amdhsa_float_denorm_mode_16_64 3
		.amdhsa_fp16_overflow 0
		.amdhsa_workgroup_processor_mode 1
		.amdhsa_memory_ordered 1
		.amdhsa_forward_progress 0
		.amdhsa_round_robin_scheduling 0
		.amdhsa_exception_fp_ieee_invalid_op 0
		.amdhsa_exception_fp_denorm_src 0
		.amdhsa_exception_fp_ieee_div_zero 0
		.amdhsa_exception_fp_ieee_overflow 0
		.amdhsa_exception_fp_ieee_underflow 0
		.amdhsa_exception_fp_ieee_inexact 0
		.amdhsa_exception_int_div_zero 0
	.end_amdhsa_kernel
	.text
.Lfunc_end0:
	.size	bluestein_single_back_len306_dim1_half_op_CI_CI, .Lfunc_end0-bluestein_single_back_len306_dim1_half_op_CI_CI
                                        ; -- End function
	.section	.AMDGPU.csdata,"",@progbits
; Kernel info:
; codeLenInByte = 31780
; NumSgprs: 18
; NumVgprs: 222
; ScratchSize: 0
; MemoryBound: 0
; FloatMode: 240
; IeeeMode: 1
; LDSByteSize: 8568 bytes/workgroup (compile time only)
; SGPRBlocks: 2
; VGPRBlocks: 27
; NumSGPRsForWavesPerEU: 18
; NumVGPRsForWavesPerEU: 222
; Occupancy: 6
; WaveLimiterHint : 1
; COMPUTE_PGM_RSRC2:SCRATCH_EN: 0
; COMPUTE_PGM_RSRC2:USER_SGPR: 2
; COMPUTE_PGM_RSRC2:TRAP_HANDLER: 0
; COMPUTE_PGM_RSRC2:TGID_X_EN: 1
; COMPUTE_PGM_RSRC2:TGID_Y_EN: 0
; COMPUTE_PGM_RSRC2:TGID_Z_EN: 0
; COMPUTE_PGM_RSRC2:TIDIG_COMP_CNT: 0
	.text
	.p2alignl 7, 3214868480
	.fill 96, 4, 3214868480
	.type	__hip_cuid_3336d00ad44c3c89,@object ; @__hip_cuid_3336d00ad44c3c89
	.section	.bss,"aw",@nobits
	.globl	__hip_cuid_3336d00ad44c3c89
__hip_cuid_3336d00ad44c3c89:
	.byte	0                               ; 0x0
	.size	__hip_cuid_3336d00ad44c3c89, 1

	.ident	"AMD clang version 19.0.0git (https://github.com/RadeonOpenCompute/llvm-project roc-6.4.0 25133 c7fe45cf4b819c5991fe208aaa96edf142730f1d)"
	.section	".note.GNU-stack","",@progbits
	.addrsig
	.addrsig_sym __hip_cuid_3336d00ad44c3c89
	.amdgpu_metadata
---
amdhsa.kernels:
  - .args:
      - .actual_access:  read_only
        .address_space:  global
        .offset:         0
        .size:           8
        .value_kind:     global_buffer
      - .actual_access:  read_only
        .address_space:  global
        .offset:         8
        .size:           8
        .value_kind:     global_buffer
      - .actual_access:  read_only
        .address_space:  global
        .offset:         16
        .size:           8
        .value_kind:     global_buffer
      - .actual_access:  read_only
        .address_space:  global
        .offset:         24
        .size:           8
        .value_kind:     global_buffer
      - .actual_access:  read_only
        .address_space:  global
        .offset:         32
        .size:           8
        .value_kind:     global_buffer
      - .offset:         40
        .size:           8
        .value_kind:     by_value
      - .address_space:  global
        .offset:         48
        .size:           8
        .value_kind:     global_buffer
      - .address_space:  global
        .offset:         56
        .size:           8
        .value_kind:     global_buffer
      - .address_space:  global
        .offset:         64
        .size:           8
        .value_kind:     global_buffer
      - .address_space:  global
        .offset:         72
        .size:           8
        .value_kind:     global_buffer
      - .offset:         80
        .size:           4
        .value_kind:     by_value
      - .address_space:  global
        .offset:         88
        .size:           8
        .value_kind:     global_buffer
      - .address_space:  global
        .offset:         96
        .size:           8
        .value_kind:     global_buffer
    .group_segment_fixed_size: 8568
    .kernarg_segment_align: 8
    .kernarg_segment_size: 104
    .language:       OpenCL C
    .language_version:
      - 2
      - 0
    .max_flat_workgroup_size: 238
    .name:           bluestein_single_back_len306_dim1_half_op_CI_CI
    .private_segment_fixed_size: 0
    .sgpr_count:     18
    .sgpr_spill_count: 0
    .symbol:         bluestein_single_back_len306_dim1_half_op_CI_CI.kd
    .uniform_work_group_size: 1
    .uses_dynamic_stack: false
    .vgpr_count:     222
    .vgpr_spill_count: 0
    .wavefront_size: 32
    .workgroup_processor_mode: 1
amdhsa.target:   amdgcn-amd-amdhsa--gfx1201
amdhsa.version:
  - 1
  - 2
...

	.end_amdgpu_metadata
